;; amdgpu-corpus repo=ROCm/rocFFT kind=compiled arch=gfx950 opt=O3
	.text
	.amdgcn_target "amdgcn-amd-amdhsa--gfx950"
	.amdhsa_code_object_version 6
	.protected	fft_rtc_back_len3600_factors_10_10_6_6_wgs_120_tpt_120_halfLds_dp_ip_CI_sbrr_dirReg ; -- Begin function fft_rtc_back_len3600_factors_10_10_6_6_wgs_120_tpt_120_halfLds_dp_ip_CI_sbrr_dirReg
	.globl	fft_rtc_back_len3600_factors_10_10_6_6_wgs_120_tpt_120_halfLds_dp_ip_CI_sbrr_dirReg
	.p2align	8
	.type	fft_rtc_back_len3600_factors_10_10_6_6_wgs_120_tpt_120_halfLds_dp_ip_CI_sbrr_dirReg,@function
fft_rtc_back_len3600_factors_10_10_6_6_wgs_120_tpt_120_halfLds_dp_ip_CI_sbrr_dirReg: ; @fft_rtc_back_len3600_factors_10_10_6_6_wgs_120_tpt_120_halfLds_dp_ip_CI_sbrr_dirReg
; %bb.0:
	s_load_dwordx2 s[12:13], s[0:1], 0x18
	s_load_dwordx4 s[4:7], s[0:1], 0x0
	s_load_dwordx2 s[10:11], s[0:1], 0x50
	v_mul_u32_u24_e32 v1, 0x223, v0
	v_add_u32_sdwa v6, s2, v1 dst_sel:DWORD dst_unused:UNUSED_PAD src0_sel:DWORD src1_sel:WORD_1
	s_waitcnt lgkmcnt(0)
	s_load_dwordx2 s[8:9], s[12:13], 0x0
	v_mov_b32_e32 v4, 0
	v_cmp_lt_u64_e64 s[2:3], s[6:7], 2
	v_mov_b32_e32 v7, v4
	s_and_b64 vcc, exec, s[2:3]
	v_mov_b64_e32 v[2:3], 0
	s_cbranch_vccnz .LBB0_8
; %bb.1:
	s_load_dwordx2 s[2:3], s[0:1], 0x10
	s_add_u32 s14, s12, 8
	s_addc_u32 s15, s13, 0
	s_mov_b64 s[16:17], 1
	v_mov_b64_e32 v[2:3], 0
	s_waitcnt lgkmcnt(0)
	s_add_u32 s18, s2, 8
	s_addc_u32 s19, s3, 0
.LBB0_2:                                ; =>This Inner Loop Header: Depth=1
	s_load_dwordx2 s[20:21], s[18:19], 0x0
                                        ; implicit-def: $vgpr8_vgpr9
	s_waitcnt lgkmcnt(0)
	v_or_b32_e32 v5, s21, v7
	v_cmp_ne_u64_e32 vcc, 0, v[4:5]
	s_and_saveexec_b64 s[2:3], vcc
	s_xor_b64 s[22:23], exec, s[2:3]
	s_cbranch_execz .LBB0_4
; %bb.3:                                ;   in Loop: Header=BB0_2 Depth=1
	v_cvt_f32_u32_e32 v1, s20
	v_cvt_f32_u32_e32 v5, s21
	s_sub_u32 s2, 0, s20
	s_subb_u32 s3, 0, s21
	v_fmac_f32_e32 v1, 0x4f800000, v5
	v_rcp_f32_e32 v1, v1
	s_nop 0
	v_mul_f32_e32 v1, 0x5f7ffffc, v1
	v_mul_f32_e32 v5, 0x2f800000, v1
	v_trunc_f32_e32 v5, v5
	v_fmac_f32_e32 v1, 0xcf800000, v5
	v_cvt_u32_f32_e32 v5, v5
	v_cvt_u32_f32_e32 v1, v1
	v_mul_lo_u32 v8, s2, v5
	v_mul_hi_u32 v10, s2, v1
	v_mul_lo_u32 v9, s3, v1
	v_add_u32_e32 v10, v10, v8
	v_mul_lo_u32 v12, s2, v1
	v_add_u32_e32 v13, v10, v9
	v_mul_hi_u32 v8, v1, v12
	v_mul_hi_u32 v11, v1, v13
	v_mul_lo_u32 v10, v1, v13
	v_mov_b32_e32 v9, v4
	v_lshl_add_u64 v[8:9], v[8:9], 0, v[10:11]
	v_mul_hi_u32 v11, v5, v12
	v_mul_lo_u32 v12, v5, v12
	v_add_co_u32_e32 v8, vcc, v8, v12
	v_mul_hi_u32 v10, v5, v13
	s_nop 0
	v_addc_co_u32_e32 v8, vcc, v9, v11, vcc
	v_mov_b32_e32 v9, v4
	s_nop 0
	v_addc_co_u32_e32 v11, vcc, 0, v10, vcc
	v_mul_lo_u32 v10, v5, v13
	v_lshl_add_u64 v[8:9], v[8:9], 0, v[10:11]
	v_add_co_u32_e32 v1, vcc, v1, v8
	v_mul_lo_u32 v10, s2, v1
	s_nop 0
	v_addc_co_u32_e32 v5, vcc, v5, v9, vcc
	v_mul_lo_u32 v8, s2, v5
	v_mul_hi_u32 v9, s2, v1
	v_add_u32_e32 v8, v9, v8
	v_mul_lo_u32 v9, s3, v1
	v_add_u32_e32 v12, v8, v9
	v_mul_hi_u32 v14, v5, v10
	v_mul_lo_u32 v15, v5, v10
	v_mul_hi_u32 v9, v1, v12
	v_mul_lo_u32 v8, v1, v12
	v_mul_hi_u32 v10, v1, v10
	v_mov_b32_e32 v11, v4
	v_lshl_add_u64 v[8:9], v[10:11], 0, v[8:9]
	v_add_co_u32_e32 v8, vcc, v8, v15
	v_mul_hi_u32 v13, v5, v12
	s_nop 0
	v_addc_co_u32_e32 v8, vcc, v9, v14, vcc
	v_mul_lo_u32 v10, v5, v12
	s_nop 0
	v_addc_co_u32_e32 v11, vcc, 0, v13, vcc
	v_mov_b32_e32 v9, v4
	v_lshl_add_u64 v[8:9], v[8:9], 0, v[10:11]
	v_add_co_u32_e32 v1, vcc, v1, v8
	v_mul_hi_u32 v10, v6, v1
	s_nop 0
	v_addc_co_u32_e32 v5, vcc, v5, v9, vcc
	v_mad_u64_u32 v[8:9], s[2:3], v6, v5, 0
	v_mov_b32_e32 v11, v4
	v_lshl_add_u64 v[8:9], v[10:11], 0, v[8:9]
	v_mad_u64_u32 v[12:13], s[2:3], v7, v1, 0
	v_add_co_u32_e32 v1, vcc, v8, v12
	v_mad_u64_u32 v[10:11], s[2:3], v7, v5, 0
	s_nop 0
	v_addc_co_u32_e32 v8, vcc, v9, v13, vcc
	v_mov_b32_e32 v9, v4
	s_nop 0
	v_addc_co_u32_e32 v11, vcc, 0, v11, vcc
	v_lshl_add_u64 v[8:9], v[8:9], 0, v[10:11]
	v_mul_lo_u32 v1, s21, v8
	v_mul_lo_u32 v5, s20, v9
	v_mad_u64_u32 v[10:11], s[2:3], s20, v8, 0
	v_add3_u32 v1, v11, v5, v1
	v_sub_u32_e32 v5, v7, v1
	v_mov_b32_e32 v11, s21
	v_sub_co_u32_e32 v14, vcc, v6, v10
	v_lshl_add_u64 v[12:13], v[8:9], 0, 1
	s_nop 0
	v_subb_co_u32_e64 v5, s[2:3], v5, v11, vcc
	v_subrev_co_u32_e64 v10, s[2:3], s20, v14
	v_subb_co_u32_e32 v1, vcc, v7, v1, vcc
	s_nop 0
	v_subbrev_co_u32_e64 v5, s[2:3], 0, v5, s[2:3]
	v_cmp_le_u32_e64 s[2:3], s21, v5
	v_cmp_le_u32_e32 vcc, s21, v1
	s_nop 0
	v_cndmask_b32_e64 v11, 0, -1, s[2:3]
	v_cmp_le_u32_e64 s[2:3], s20, v10
	s_nop 1
	v_cndmask_b32_e64 v10, 0, -1, s[2:3]
	v_cmp_eq_u32_e64 s[2:3], s21, v5
	s_nop 1
	v_cndmask_b32_e64 v5, v11, v10, s[2:3]
	v_lshl_add_u64 v[10:11], v[8:9], 0, 2
	v_cmp_ne_u32_e64 s[2:3], 0, v5
	s_nop 1
	v_cndmask_b32_e64 v5, v13, v11, s[2:3]
	v_cndmask_b32_e64 v11, 0, -1, vcc
	v_cmp_le_u32_e32 vcc, s20, v14
	s_nop 1
	v_cndmask_b32_e64 v13, 0, -1, vcc
	v_cmp_eq_u32_e32 vcc, s21, v1
	s_nop 1
	v_cndmask_b32_e32 v1, v11, v13, vcc
	v_cmp_ne_u32_e32 vcc, 0, v1
	v_cndmask_b32_e64 v1, v12, v10, s[2:3]
	s_nop 0
	v_cndmask_b32_e32 v9, v9, v5, vcc
	v_cndmask_b32_e32 v8, v8, v1, vcc
.LBB0_4:                                ;   in Loop: Header=BB0_2 Depth=1
	s_andn2_saveexec_b64 s[2:3], s[22:23]
	s_cbranch_execz .LBB0_6
; %bb.5:                                ;   in Loop: Header=BB0_2 Depth=1
	v_cvt_f32_u32_e32 v1, s20
	s_sub_i32 s22, 0, s20
	v_rcp_iflag_f32_e32 v1, v1
	s_nop 0
	v_mul_f32_e32 v1, 0x4f7ffffe, v1
	v_cvt_u32_f32_e32 v1, v1
	v_mul_lo_u32 v5, s22, v1
	v_mul_hi_u32 v5, v1, v5
	v_add_u32_e32 v1, v1, v5
	v_mul_hi_u32 v1, v6, v1
	v_mul_lo_u32 v5, v1, s20
	v_sub_u32_e32 v5, v6, v5
	v_add_u32_e32 v8, 1, v1
	v_subrev_u32_e32 v9, s20, v5
	v_cmp_le_u32_e32 vcc, s20, v5
	s_nop 1
	v_cndmask_b32_e32 v5, v5, v9, vcc
	v_cndmask_b32_e32 v1, v1, v8, vcc
	v_add_u32_e32 v8, 1, v1
	v_cmp_le_u32_e32 vcc, s20, v5
	v_mov_b32_e32 v9, v4
	s_nop 0
	v_cndmask_b32_e32 v8, v1, v8, vcc
.LBB0_6:                                ;   in Loop: Header=BB0_2 Depth=1
	s_or_b64 exec, exec, s[2:3]
	v_mad_u64_u32 v[10:11], s[2:3], v8, s20, 0
	s_load_dwordx2 s[2:3], s[14:15], 0x0
	v_mul_lo_u32 v1, v9, s20
	v_mul_lo_u32 v5, v8, s21
	v_add3_u32 v1, v11, v5, v1
	v_sub_co_u32_e32 v5, vcc, v6, v10
	s_add_u32 s16, s16, 1
	s_nop 0
	v_subb_co_u32_e32 v1, vcc, v7, v1, vcc
	s_addc_u32 s17, s17, 0
	s_waitcnt lgkmcnt(0)
	v_mul_lo_u32 v1, s2, v1
	v_mul_lo_u32 v6, s3, v5
	v_mad_u64_u32 v[2:3], s[2:3], s2, v5, v[2:3]
	s_add_u32 s14, s14, 8
	v_add3_u32 v3, v6, v3, v1
	s_addc_u32 s15, s15, 0
	v_mov_b64_e32 v[6:7], s[6:7]
	s_add_u32 s18, s18, 8
	v_cmp_ge_u64_e32 vcc, s[16:17], v[6:7]
	s_addc_u32 s19, s19, 0
	s_cbranch_vccnz .LBB0_9
; %bb.7:                                ;   in Loop: Header=BB0_2 Depth=1
	v_mov_b64_e32 v[6:7], v[8:9]
	s_branch .LBB0_2
.LBB0_8:
	v_mov_b64_e32 v[8:9], v[6:7]
.LBB0_9:
	s_lshl_b64 s[2:3], s[6:7], 3
	s_add_u32 s2, s12, s2
	s_addc_u32 s3, s13, s3
	s_load_dwordx2 s[6:7], s[2:3], 0x0
	s_load_dwordx2 s[12:13], s[0:1], 0x20
	s_mov_b32 s2, 0x2222223
                                        ; implicit-def: $vgpr126_vgpr127
                                        ; implicit-def: $vgpr129
                                        ; implicit-def: $vgpr130
	s_waitcnt lgkmcnt(0)
	v_mul_lo_u32 v1, s6, v9
	v_mul_lo_u32 v4, s7, v8
	v_mad_u64_u32 v[2:3], s[0:1], s6, v8, v[2:3]
	v_add3_u32 v3, v4, v3, v1
	v_mul_hi_u32 v1, v0, s2
	v_mul_u32_u24_e32 v1, 0x78, v1
	v_cmp_gt_u64_e32 vcc, s[12:13], v[8:9]
	v_cmp_le_u64_e64 s[0:1], s[12:13], v[8:9]
	v_sub_u32_e32 v128, v0, v1
	s_and_saveexec_b64 s[2:3], s[0:1]
	s_xor_b64 s[0:1], exec, s[2:3]
; %bb.10:
	v_add_u32_e32 v129, 0x78, v128
	v_add_u32_e32 v127, 0xf0, v128
	v_add_u32_e32 v126, 0x168, v128
	v_add_u32_e32 v130, 0x1e0, v128
; %bb.11:
	s_or_saveexec_b64 s[0:1], s[0:1]
	v_lshl_add_u64 v[124:125], v[2:3], 4, s[10:11]
                                        ; implicit-def: $vgpr22_vgpr23
                                        ; implicit-def: $vgpr38_vgpr39
                                        ; implicit-def: $vgpr18_vgpr19
                                        ; implicit-def: $vgpr34_vgpr35
                                        ; implicit-def: $vgpr14_vgpr15
                                        ; implicit-def: $vgpr30_vgpr31
                                        ; implicit-def: $vgpr10_vgpr11
                                        ; implicit-def: $vgpr26_vgpr27
                                        ; implicit-def: $vgpr6_vgpr7
                                        ; implicit-def: $vgpr2_vgpr3
                                        ; implicit-def: $vgpr78_vgpr79
                                        ; implicit-def: $vgpr110_vgpr111
                                        ; implicit-def: $vgpr74_vgpr75
                                        ; implicit-def: $vgpr106_vgpr107
                                        ; implicit-def: $vgpr82_vgpr83
                                        ; implicit-def: $vgpr102_vgpr103
                                        ; implicit-def: $vgpr70_vgpr71
                                        ; implicit-def: $vgpr98_vgpr99
                                        ; implicit-def: $vgpr46_vgpr47
                                        ; implicit-def: $vgpr42_vgpr43
                                        ; implicit-def: $vgpr60_vgpr61
                                        ; implicit-def: $vgpr114_vgpr115
                                        ; implicit-def: $vgpr50_vgpr51
                                        ; implicit-def: $vgpr94_vgpr95
                                        ; implicit-def: $vgpr90_vgpr91
                                        ; implicit-def: $vgpr122_vgpr123
                                        ; implicit-def: $vgpr86_vgpr87
                                        ; implicit-def: $vgpr118_vgpr119
                                        ; implicit-def: $vgpr56_vgpr57
                                        ; implicit-def: $vgpr64_vgpr65
	s_xor_b64 exec, exec, s[0:1]
	s_cbranch_execz .LBB0_13
; %bb.12:
	v_mad_u64_u32 v[0:1], s[2:3], s8, v128, 0
	v_mov_b32_e32 v2, v1
	v_mad_u64_u32 v[2:3], s[2:3], s9, v128, v[2:3]
	v_add_u32_e32 v126, 0x168, v128
	v_mov_b32_e32 v1, v2
	v_mad_u64_u32 v[2:3], s[2:3], s8, v126, 0
	v_mov_b32_e32 v4, v3
	v_mad_u64_u32 v[4:5], s[2:3], s9, v126, v[4:5]
	v_add_u32_e32 v7, 0x2d0, v128
	v_mov_b32_e32 v3, v4
	;; [unrolled: 5-line block ×14, first 2 shown]
	v_mad_u64_u32 v[28:29], s[2:3], s8, v31, 0
	v_mov_b32_e32 v30, v29
	v_mad_u64_u32 v[30:31], s[2:3], s9, v31, v[30:31]
	v_or_b32_e32 v33, 0x780, v128
	v_mov_b32_e32 v29, v30
	v_mad_u64_u32 v[30:31], s[2:3], s8, v33, 0
	v_mov_b32_e32 v32, v31
	v_mad_u64_u32 v[32:33], s[2:3], s9, v33, v[32:33]
	v_add_u32_e32 v35, 0x8e8, v128
	v_mov_b32_e32 v31, v32
	v_mad_u64_u32 v[32:33], s[2:3], s8, v35, 0
	v_mov_b32_e32 v34, v33
	v_mad_u64_u32 v[34:35], s[2:3], s9, v35, v[34:35]
	v_add_u32_e32 v37, 0xa50, v128
	;; [unrolled: 5-line block ×4, first 2 shown]
	v_mov_b32_e32 v37, v38
	v_mad_u64_u32 v[38:39], s[2:3], s8, v41, 0
	v_mov_b32_e32 v40, v39
	v_add_u32_e32 v127, 0xf0, v128
	v_mad_u64_u32 v[40:41], s[2:3], s9, v41, v[40:41]
	v_mov_b32_e32 v39, v40
	v_mad_u64_u32 v[40:41], s[2:3], s8, v127, 0
	v_mov_b32_e32 v42, v41
	v_mad_u64_u32 v[42:43], s[2:3], s9, v127, v[42:43]
	v_add_u32_e32 v45, 0x258, v128
	v_mov_b32_e32 v41, v42
	v_mad_u64_u32 v[42:43], s[2:3], s8, v45, 0
	v_mov_b32_e32 v44, v43
	v_mad_u64_u32 v[44:45], s[2:3], s9, v45, v[44:45]
	v_add_u32_e32 v47, 0x3c0, v128
	;; [unrolled: 5-line block ×9, first 2 shown]
	v_mov_b32_e32 v57, v58
	v_mad_u64_u32 v[58:59], s[2:3], s8, v61, 0
	v_mov_b32_e32 v60, v59
	v_mad_u64_u32 v[60:61], s[2:3], s9, v61, v[60:61]
	v_mov_b32_e32 v59, v60
	v_lshl_add_u64 v[0:1], v[0:1], 4, v[124:125]
	v_lshl_add_u64 v[2:3], v[2:3], 4, v[124:125]
	;; [unrolled: 1-line block ×30, first 2 shown]
	global_load_dwordx4 v[62:65], v[0:1], off
	global_load_dwordx4 v[54:57], v[2:3], off
	;; [unrolled: 1-line block ×15, first 2 shown]
                                        ; kill: killed $vgpr10_vgpr11
                                        ; kill: killed $vgpr0_vgpr1
                                        ; kill: killed $vgpr24_vgpr25
                                        ; kill: killed $vgpr20_vgpr21
                                        ; kill: killed $vgpr16_vgpr17
                                        ; kill: killed $vgpr2_vgpr3
                                        ; kill: killed $vgpr8_vgpr9
                                        ; kill: killed $vgpr22_vgpr23
                                        ; kill: killed $vgpr14_vgpr15
                                        ; kill: killed $vgpr28_vgpr29
                                        ; kill: killed $vgpr6_vgpr7
                                        ; kill: killed $vgpr12_vgpr13
                                        ; kill: killed $vgpr26_vgpr27
                                        ; kill: killed $vgpr18_vgpr19
                                        ; kill: killed $vgpr4_vgpr5
	global_load_dwordx4 v[80:83], v[30:31], off
	global_load_dwordx4 v[104:107], v[32:33], off
	;; [unrolled: 1-line block ×7, first 2 shown]
                                        ; kill: killed $vgpr38_vgpr39
                                        ; kill: killed $vgpr30_vgpr31
                                        ; kill: killed $vgpr36_vgpr37
                                        ; kill: killed $vgpr132_vgpr133
                                        ; kill: killed $vgpr34_vgpr35
                                        ; kill: killed $vgpr66_vgpr67
                                        ; kill: killed $vgpr32_vgpr33
	global_load_dwordx4 v[24:27], v[134:135], off
	global_load_dwordx4 v[8:11], v[136:137], off
	global_load_dwordx4 v[28:31], v[138:139], off
	global_load_dwordx4 v[12:15], v[140:141], off
                                        ; kill: killed $vgpr134_vgpr135
                                        ; kill: killed $vgpr140_vgpr141
                                        ; kill: killed $vgpr138_vgpr139
                                        ; kill: killed $vgpr136_vgpr137
	global_load_dwordx4 v[32:35], v[52:53], off
	global_load_dwordx4 v[16:19], v[142:143], off
                                        ; kill: killed $vgpr52_vgpr53
                                        ; kill: killed $vgpr142_vgpr143
	global_load_dwordx4 v[36:39], v[144:145], off
	global_load_dwordx4 v[20:23], v[146:147], off
.LBB0_13:
	s_or_b64 exec, exec, s[0:1]
	s_waitcnt vmcnt(27)
	v_add_f64 v[52:53], v[116:117], v[62:63]
	s_waitcnt vmcnt(25)
	v_add_f64 v[52:53], v[120:121], v[52:53]
	;; [unrolled: 2-line block ×4, first 2 shown]
	v_add_f64 v[52:53], v[92:93], v[120:121]
	s_mov_b32 s0, 0x134454ff
	v_fma_f64 v[132:133], -0.5, v[52:53], v[62:63]
	v_add_f64 v[52:53], v[118:119], -v[114:115]
	s_mov_b32 s1, 0xbfee6f0e
	s_mov_b32 s2, 0x4755a5e
	;; [unrolled: 1-line block ×4, first 2 shown]
	v_fma_f64 v[134:135], s[0:1], v[52:53], v[132:133]
	v_add_f64 v[136:137], v[122:123], -v[94:95]
	s_mov_b32 s3, 0xbfe2cf23
	v_add_f64 v[138:139], v[116:117], -v[120:121]
	v_add_f64 v[140:141], v[112:113], -v[92:93]
	s_mov_b32 s6, 0x372fe950
	v_fmac_f64_e32 v[132:133], s[10:11], v[52:53]
	s_mov_b32 s13, 0x3fe2cf23
	s_mov_b32 s12, s2
	v_fmac_f64_e32 v[134:135], s[2:3], v[136:137]
	v_add_f64 v[138:139], v[140:141], v[138:139]
	s_mov_b32 s7, 0x3fd3c6ef
	v_fmac_f64_e32 v[132:133], s[12:13], v[136:137]
	v_fmac_f64_e32 v[134:135], s[6:7], v[138:139]
	;; [unrolled: 1-line block ×3, first 2 shown]
	v_add_f64 v[138:139], v[112:113], v[116:117]
	v_fmac_f64_e32 v[62:63], -0.5, v[138:139]
	v_fma_f64 v[138:139], s[10:11], v[136:137], v[62:63]
	v_fmac_f64_e32 v[62:63], s[0:1], v[136:137]
	v_fmac_f64_e32 v[138:139], s[2:3], v[52:53]
	;; [unrolled: 1-line block ×3, first 2 shown]
	v_add_f64 v[52:53], v[118:119], v[64:65]
	v_add_f64 v[52:53], v[122:123], v[52:53]
	v_add_f64 v[140:141], v[120:121], -v[116:117]
	v_add_f64 v[142:143], v[92:93], -v[112:113]
	v_add_f64 v[52:53], v[94:95], v[52:53]
	v_add_f64 v[140:141], v[142:143], v[140:141]
	;; [unrolled: 1-line block ×4, first 2 shown]
	v_fmac_f64_e32 v[138:139], s[6:7], v[140:141]
	v_fmac_f64_e32 v[62:63], s[6:7], v[140:141]
	v_fma_f64 v[140:141], -0.5, v[52:53], v[64:65]
	v_add_f64 v[52:53], v[116:117], -v[112:113]
	v_fma_f64 v[142:143], s[10:11], v[52:53], v[140:141]
	v_add_f64 v[92:93], v[120:121], -v[92:93]
	v_add_f64 v[112:113], v[118:119], -v[122:123]
	v_add_f64 v[116:117], v[114:115], -v[94:95]
	v_fmac_f64_e32 v[140:141], s[0:1], v[52:53]
	v_fmac_f64_e32 v[142:143], s[12:13], v[92:93]
	v_add_f64 v[112:113], v[116:117], v[112:113]
	v_fmac_f64_e32 v[140:141], s[2:3], v[92:93]
	v_fmac_f64_e32 v[142:143], s[6:7], v[112:113]
	;; [unrolled: 1-line block ×3, first 2 shown]
	v_add_f64 v[112:113], v[114:115], v[118:119]
	v_fmac_f64_e32 v[64:65], -0.5, v[112:113]
	v_fma_f64 v[120:121], s[0:1], v[92:93], v[64:65]
	v_fmac_f64_e32 v[64:65], s[10:11], v[92:93]
	v_fmac_f64_e32 v[120:121], s[12:13], v[52:53]
	;; [unrolled: 1-line block ×3, first 2 shown]
	v_add_f64 v[52:53], v[84:85], v[54:55]
	v_add_f64 v[112:113], v[122:123], -v[118:119]
	v_add_f64 v[94:95], v[94:95], -v[114:115]
	v_add_f64 v[52:53], v[88:89], v[52:53]
	v_add_f64 v[94:95], v[94:95], v[112:113]
	;; [unrolled: 1-line block ×3, first 2 shown]
	v_fmac_f64_e32 v[120:121], s[6:7], v[94:95]
	v_fmac_f64_e32 v[64:65], s[6:7], v[94:95]
	s_waitcnt vmcnt(20)
	v_add_f64 v[94:95], v[58:59], v[52:53]
	v_add_f64 v[52:53], v[48:49], v[88:89]
	v_fma_f64 v[112:113], -0.5, v[52:53], v[54:55]
	v_add_f64 v[52:53], v[86:87], -v[60:61]
	v_fma_f64 v[114:115], s[0:1], v[52:53], v[112:113]
	v_add_f64 v[92:93], v[90:91], -v[50:51]
	v_add_f64 v[116:117], v[84:85], -v[88:89]
	;; [unrolled: 1-line block ×3, first 2 shown]
	v_fmac_f64_e32 v[112:113], s[10:11], v[52:53]
	v_fmac_f64_e32 v[114:115], s[2:3], v[92:93]
	v_add_f64 v[116:117], v[118:119], v[116:117]
	v_fmac_f64_e32 v[112:113], s[12:13], v[92:93]
	v_fmac_f64_e32 v[114:115], s[6:7], v[116:117]
	;; [unrolled: 1-line block ×3, first 2 shown]
	v_add_f64 v[116:117], v[58:59], v[84:85]
	v_fmac_f64_e32 v[54:55], -0.5, v[116:117]
	v_fma_f64 v[116:117], s[10:11], v[92:93], v[54:55]
	v_fmac_f64_e32 v[54:55], s[0:1], v[92:93]
	v_fmac_f64_e32 v[116:117], s[2:3], v[52:53]
	;; [unrolled: 1-line block ×3, first 2 shown]
	v_add_f64 v[52:53], v[86:87], v[56:57]
	v_add_f64 v[52:53], v[90:91], v[52:53]
	v_add_f64 v[118:119], v[88:89], -v[84:85]
	v_add_f64 v[122:123], v[48:49], -v[58:59]
	v_add_f64 v[52:53], v[50:51], v[52:53]
	v_add_f64 v[118:119], v[122:123], v[118:119]
	;; [unrolled: 1-line block ×4, first 2 shown]
	v_fmac_f64_e32 v[116:117], s[6:7], v[118:119]
	v_fmac_f64_e32 v[54:55], s[6:7], v[118:119]
	v_fma_f64 v[118:119], -0.5, v[52:53], v[56:57]
	v_add_f64 v[52:53], v[84:85], -v[58:59]
	v_fma_f64 v[58:59], s[10:11], v[52:53], v[118:119]
	v_add_f64 v[48:49], v[88:89], -v[48:49]
	v_add_f64 v[84:85], v[86:87], -v[90:91]
	;; [unrolled: 1-line block ×3, first 2 shown]
	v_fmac_f64_e32 v[118:119], s[0:1], v[52:53]
	v_fmac_f64_e32 v[58:59], s[12:13], v[48:49]
	v_add_f64 v[84:85], v[88:89], v[84:85]
	v_fmac_f64_e32 v[118:119], s[2:3], v[48:49]
	v_fmac_f64_e32 v[58:59], s[6:7], v[84:85]
	;; [unrolled: 1-line block ×3, first 2 shown]
	v_add_f64 v[84:85], v[60:61], v[86:87]
	v_fmac_f64_e32 v[56:57], -0.5, v[84:85]
	v_fma_f64 v[144:145], s[0:1], v[48:49], v[56:57]
	v_add_f64 v[84:85], v[90:91], -v[86:87]
	v_add_f64 v[50:51], v[50:51], -v[60:61]
	v_fmac_f64_e32 v[144:145], s[12:13], v[52:53]
	v_add_f64 v[50:51], v[50:51], v[84:85]
	s_mov_b32 s14, 0x9b97f4a8
	v_fmac_f64_e32 v[144:145], s[6:7], v[50:51]
	v_fmac_f64_e32 v[56:57], s[10:11], v[48:49]
	s_mov_b32 s15, 0x3fe9e377
	v_mul_f64 v[150:151], v[118:119], s[2:3]
	s_mov_b32 s19, 0xbfe9e377
	s_mov_b32 s18, s14
	v_mul_f64 v[152:153], v[114:115], s[12:13]
	v_fmac_f64_e32 v[56:57], s[2:3], v[52:53]
	v_mul_f64 v[60:61], v[58:59], s[2:3]
	v_mul_f64 v[146:147], v[144:145], s[0:1]
	v_fmac_f64_e32 v[150:151], s[18:19], v[112:113]
	v_add_f64 v[48:49], v[122:123], v[136:137]
	v_fmac_f64_e32 v[152:153], s[14:15], v[58:59]
	v_mul_f64 v[156:157], v[118:119], s[18:19]
	v_add_f64 v[58:59], v[136:137], -v[122:123]
	s_waitcnt vmcnt(13)
	v_add_f64 v[122:123], v[104:105], v[100:101]
	v_fmac_f64_e32 v[56:57], s[6:7], v[50:51]
	v_fmac_f64_e32 v[60:61], s[14:15], v[114:115]
	;; [unrolled: 1-line block ×3, first 2 shown]
	s_mov_b32 s17, 0xbfd3c6ef
	s_mov_b32 s16, s6
	v_add_f64 v[92:93], v[132:133], v[150:151]
	v_mul_f64 v[154:155], v[116:117], s[10:11]
	v_fmac_f64_e32 v[156:157], s[12:13], v[112:113]
	v_add_f64 v[118:119], v[132:133], -v[150:151]
	v_fma_f64 v[122:123], -0.5, v[122:123], v[40:41]
	s_waitcnt vmcnt(11)
	v_add_f64 v[132:133], v[98:99], -v[110:111]
	v_add_f64 v[84:85], v[94:95], v[66:67]
	v_add_f64 v[86:87], v[134:135], v[60:61]
	;; [unrolled: 1-line block ×3, first 2 shown]
	v_mul_f64 v[148:149], v[56:57], s[0:1]
	v_fmac_f64_e32 v[154:155], s[6:7], v[144:145]
	v_mul_f64 v[144:145], v[56:57], s[16:17]
	v_add_f64 v[56:57], v[140:141], v[156:157]
	v_add_f64 v[94:95], v[66:67], -v[94:95]
	v_add_f64 v[112:113], v[134:135], -v[60:61]
	;; [unrolled: 1-line block ×4, first 2 shown]
	v_fma_f64 v[134:135], s[0:1], v[132:133], v[122:123]
	v_add_f64 v[136:137], v[102:103], -v[106:107]
	v_add_f64 v[138:139], v[96:97], -v[100:101]
	;; [unrolled: 1-line block ×3, first 2 shown]
	v_fmac_f64_e32 v[122:123], s[10:11], v[132:133]
	v_fmac_f64_e32 v[134:135], s[2:3], v[136:137]
	v_add_f64 v[138:139], v[140:141], v[138:139]
	v_fmac_f64_e32 v[122:123], s[12:13], v[136:137]
	v_fmac_f64_e32 v[148:149], s[16:17], v[54:55]
	;; [unrolled: 1-line block ×4, first 2 shown]
	v_add_f64 v[138:139], v[108:109], v[96:97]
	v_add_f64 v[90:91], v[62:63], v[148:149]
	;; [unrolled: 1-line block ×3, first 2 shown]
	v_add_f64 v[116:117], v[62:63], -v[148:149]
	v_add_f64 v[62:63], v[120:121], -v[154:155]
	v_add_f64 v[120:121], v[96:97], v[40:41]
	v_fmac_f64_e32 v[40:41], -0.5, v[138:139]
	v_add_f64 v[50:51], v[142:143], v[152:153]
	v_add_f64 v[60:61], v[142:143], -v[152:153]
	v_add_f64 v[120:121], v[100:101], v[120:121]
	v_fma_f64 v[138:139], s[10:11], v[136:137], v[40:41]
	v_add_f64 v[140:141], v[100:101], -v[96:97]
	v_add_f64 v[142:143], v[104:105], -v[108:109]
	v_fmac_f64_e32 v[40:41], s[0:1], v[136:137]
	v_add_f64 v[136:137], v[106:107], v[102:103]
	v_add_f64 v[120:121], v[104:105], v[120:121]
	v_fmac_f64_e32 v[138:139], s[2:3], v[132:133]
	v_add_f64 v[140:141], v[142:143], v[140:141]
	v_fmac_f64_e32 v[40:41], s[12:13], v[132:133]
	v_fma_f64 v[136:137], -0.5, v[136:137], v[42:43]
	v_add_f64 v[96:97], v[96:97], -v[108:109]
	v_add_f64 v[120:121], v[108:109], v[120:121]
	v_fmac_f64_e32 v[138:139], s[6:7], v[140:141]
	v_fmac_f64_e32 v[40:41], s[6:7], v[140:141]
	v_fma_f64 v[140:141], s[10:11], v[96:97], v[136:137]
	v_add_f64 v[100:101], v[100:101], -v[104:105]
	v_add_f64 v[104:105], v[98:99], -v[102:103]
	;; [unrolled: 1-line block ×3, first 2 shown]
	v_fmac_f64_e32 v[136:137], s[0:1], v[96:97]
	v_fmac_f64_e32 v[140:141], s[12:13], v[100:101]
	v_add_f64 v[104:105], v[108:109], v[104:105]
	v_fmac_f64_e32 v[136:137], s[2:3], v[100:101]
	v_fmac_f64_e32 v[140:141], s[6:7], v[104:105]
	;; [unrolled: 1-line block ×3, first 2 shown]
	v_add_f64 v[104:105], v[110:111], v[98:99]
	v_add_f64 v[132:133], v[98:99], v[42:43]
	v_fmac_f64_e32 v[42:43], -0.5, v[104:105]
	v_add_f64 v[132:133], v[102:103], v[132:133]
	v_fma_f64 v[142:143], s[0:1], v[100:101], v[42:43]
	v_add_f64 v[98:99], v[102:103], -v[98:99]
	v_add_f64 v[102:103], v[106:107], -v[110:111]
	v_fmac_f64_e32 v[42:43], s[10:11], v[100:101]
	v_fmac_f64_e32 v[142:143], s[12:13], v[96:97]
	v_add_f64 v[98:99], v[102:103], v[98:99]
	v_fmac_f64_e32 v[42:43], s[2:3], v[96:97]
	v_fmac_f64_e32 v[142:143], s[6:7], v[98:99]
	;; [unrolled: 1-line block ×3, first 2 shown]
	v_add_f64 v[98:99], v[72:73], v[80:81]
	v_fma_f64 v[98:99], -0.5, v[98:99], v[44:45]
	s_waitcnt vmcnt(10)
	v_add_f64 v[100:101], v[70:71], -v[78:79]
	v_add_f64 v[132:133], v[106:107], v[132:133]
	v_fma_f64 v[102:103], s[0:1], v[100:101], v[98:99]
	v_add_f64 v[104:105], v[82:83], -v[74:75]
	v_add_f64 v[106:107], v[68:69], -v[80:81]
	;; [unrolled: 1-line block ×3, first 2 shown]
	v_fmac_f64_e32 v[98:99], s[10:11], v[100:101]
	v_fmac_f64_e32 v[102:103], s[2:3], v[104:105]
	v_add_f64 v[106:107], v[108:109], v[106:107]
	v_fmac_f64_e32 v[98:99], s[12:13], v[104:105]
	v_fmac_f64_e32 v[102:103], s[6:7], v[106:107]
	;; [unrolled: 1-line block ×3, first 2 shown]
	v_add_f64 v[106:107], v[76:77], v[68:69]
	v_add_f64 v[96:97], v[68:69], v[44:45]
	v_fmac_f64_e32 v[44:45], -0.5, v[106:107]
	v_fmac_f64_e32 v[144:145], s[10:11], v[54:55]
	v_add_f64 v[132:133], v[110:111], v[132:133]
	v_add_f64 v[96:97], v[80:81], v[96:97]
	v_fma_f64 v[110:111], s[10:11], v[104:105], v[44:45]
	v_fmac_f64_e32 v[44:45], s[0:1], v[104:105]
	v_add_f64 v[104:105], v[74:75], v[82:83]
	v_add_f64 v[54:55], v[64:65], v[144:145]
	v_add_f64 v[64:65], v[64:65], -v[144:145]
	v_add_f64 v[96:97], v[72:73], v[96:97]
	v_add_f64 v[106:107], v[80:81], -v[68:69]
	v_fma_f64 v[144:145], -0.5, v[104:105], v[46:47]
	v_add_f64 v[68:69], v[68:69], -v[76:77]
	v_add_f64 v[96:97], v[76:77], v[96:97]
	v_add_f64 v[108:109], v[72:73], -v[76:77]
	v_fma_f64 v[76:77], s[10:11], v[68:69], v[144:145]
	v_add_f64 v[72:73], v[80:81], -v[72:73]
	v_add_f64 v[80:81], v[70:71], -v[82:83]
	;; [unrolled: 1-line block ×3, first 2 shown]
	v_fmac_f64_e32 v[144:145], s[0:1], v[68:69]
	v_fmac_f64_e32 v[76:77], s[12:13], v[72:73]
	v_add_f64 v[80:81], v[104:105], v[80:81]
	v_fmac_f64_e32 v[144:145], s[2:3], v[72:73]
	v_fmac_f64_e32 v[110:111], s[2:3], v[100:101]
	;; [unrolled: 1-line block ×3, first 2 shown]
	v_add_f64 v[100:101], v[70:71], v[46:47]
	v_fmac_f64_e32 v[76:77], s[6:7], v[80:81]
	v_fmac_f64_e32 v[144:145], s[6:7], v[80:81]
	v_add_f64 v[80:81], v[78:79], v[70:71]
	v_add_f64 v[100:101], v[82:83], v[100:101]
	v_fmac_f64_e32 v[46:47], -0.5, v[80:81]
	v_add_f64 v[100:101], v[74:75], v[100:101]
	v_fma_f64 v[80:81], s[0:1], v[72:73], v[46:47]
	v_add_f64 v[70:71], v[82:83], -v[70:71]
	v_add_f64 v[74:75], v[74:75], -v[78:79]
	v_fmac_f64_e32 v[46:47], s[10:11], v[72:73]
	v_add_f64 v[70:71], v[74:75], v[70:71]
	v_fmac_f64_e32 v[46:47], s[2:3], v[68:69]
	v_add_f64 v[106:107], v[108:109], v[106:107]
	v_fmac_f64_e32 v[46:47], s[6:7], v[70:71]
	v_fmac_f64_e32 v[44:45], s[6:7], v[106:107]
	;; [unrolled: 1-line block ×3, first 2 shown]
	v_mul_f64 v[82:83], v[76:77], s[2:3]
	v_mul_f64 v[154:155], v[46:47], s[16:17]
	v_add_f64 v[100:101], v[78:79], v[100:101]
	v_fmac_f64_e32 v[80:81], s[6:7], v[70:71]
	v_fmac_f64_e32 v[82:83], s[14:15], v[102:103]
	v_mul_f64 v[148:149], v[46:47], s[0:1]
	v_fmac_f64_e32 v[154:155], s[10:11], v[44:45]
	v_fmac_f64_e32 v[110:111], s[6:7], v[106:107]
	v_add_f64 v[74:75], v[134:135], v[82:83]
	v_mul_f64 v[146:147], v[80:81], s[0:1]
	v_fmac_f64_e32 v[148:149], s[16:17], v[44:45]
	v_mul_f64 v[150:151], v[144:145], s[2:3]
	v_add_f64 v[68:69], v[100:101], v[132:133]
	v_mul_f64 v[102:103], v[102:103], s[12:13]
	v_add_f64 v[78:79], v[42:43], v[154:155]
	v_mul_f64 v[144:145], v[144:145], s[18:19]
	v_add_f64 v[44:45], v[134:135], -v[82:83]
	v_add_f64 v[82:83], v[132:133], -v[100:101]
	;; [unrolled: 1-line block ×3, first 2 shown]
	s_waitcnt vmcnt(3)
	v_add_f64 v[42:43], v[32:33], v[28:29]
	v_fmac_f64_e32 v[146:147], s[6:7], v[110:111]
	v_fmac_f64_e32 v[102:103], s[14:15], v[76:77]
	v_mul_f64 v[152:153], v[110:111], s[10:11]
	v_fmac_f64_e32 v[144:145], s[12:13], v[98:99]
	v_fma_f64 v[42:43], -0.5, v[42:43], v[0:1]
	s_waitcnt vmcnt(1)
	v_add_f64 v[132:133], v[26:27], -v[38:39]
	v_add_f64 v[72:73], v[96:97], v[120:121]
	v_add_f64 v[104:105], v[138:139], v[146:147]
	;; [unrolled: 1-line block ×3, first 2 shown]
	v_fmac_f64_e32 v[152:153], s[6:7], v[80:81]
	v_add_f64 v[80:81], v[136:137], v[144:145]
	v_add_f64 v[110:111], v[120:121], -v[96:97]
	v_add_f64 v[46:47], v[138:139], -v[146:147]
	;; [unrolled: 1-line block ×4, first 2 shown]
	v_fma_f64 v[144:145], s[0:1], v[132:133], v[42:43]
	v_add_f64 v[134:135], v[30:31], -v[34:35]
	v_add_f64 v[136:137], v[24:25], -v[28:29]
	;; [unrolled: 1-line block ×3, first 2 shown]
	v_fmac_f64_e32 v[42:43], s[10:11], v[132:133]
	v_fmac_f64_e32 v[144:145], s[2:3], v[134:135]
	v_add_f64 v[136:137], v[138:139], v[136:137]
	v_fmac_f64_e32 v[42:43], s[12:13], v[134:135]
	v_fmac_f64_e32 v[144:145], s[6:7], v[136:137]
	;; [unrolled: 1-line block ×3, first 2 shown]
	v_add_f64 v[136:137], v[36:37], v[24:25]
	v_add_f64 v[106:107], v[40:41], v[148:149]
	v_add_f64 v[120:121], v[40:41], -v[148:149]
	v_add_f64 v[40:41], v[24:25], v[0:1]
	v_fmac_f64_e32 v[0:1], -0.5, v[136:137]
	v_add_f64 v[40:41], v[28:29], v[40:41]
	v_fma_f64 v[146:147], s[10:11], v[134:135], v[0:1]
	v_fmac_f64_e32 v[0:1], s[0:1], v[134:135]
	v_add_f64 v[134:135], v[34:35], v[30:31]
	v_fmac_f64_e32 v[150:151], s[18:19], v[98:99]
	v_add_f64 v[76:77], v[142:143], v[152:153]
	v_add_f64 v[98:99], v[142:143], -v[152:153]
	v_add_f64 v[40:41], v[32:33], v[40:41]
	v_add_f64 v[136:137], v[28:29], -v[24:25]
	v_fma_f64 v[152:153], -0.5, v[134:135], v[2:3]
	v_add_f64 v[24:25], v[24:25], -v[36:37]
	v_add_f64 v[40:41], v[36:37], v[40:41]
	v_add_f64 v[138:139], v[32:33], -v[36:37]
	v_fma_f64 v[36:37], s[10:11], v[24:25], v[152:153]
	v_add_f64 v[28:29], v[28:29], -v[32:33]
	v_add_f64 v[32:33], v[26:27], -v[30:31]
	;; [unrolled: 1-line block ×3, first 2 shown]
	v_fmac_f64_e32 v[152:153], s[0:1], v[24:25]
	v_fmac_f64_e32 v[36:37], s[12:13], v[28:29]
	v_add_f64 v[32:33], v[134:135], v[32:33]
	v_fmac_f64_e32 v[152:153], s[2:3], v[28:29]
	v_fmac_f64_e32 v[36:37], s[6:7], v[32:33]
	;; [unrolled: 1-line block ×3, first 2 shown]
	v_add_f64 v[32:33], v[38:39], v[26:27]
	v_fmac_f64_e32 v[146:147], s[2:3], v[132:133]
	v_fmac_f64_e32 v[0:1], s[12:13], v[132:133]
	v_add_f64 v[132:133], v[26:27], v[2:3]
	v_fmac_f64_e32 v[2:3], -0.5, v[32:33]
	v_add_f64 v[132:133], v[30:31], v[132:133]
	v_fma_f64 v[32:33], s[0:1], v[28:29], v[2:3]
	v_add_f64 v[26:27], v[30:31], -v[26:27]
	v_add_f64 v[30:31], v[34:35], -v[38:39]
	v_fmac_f64_e32 v[2:3], s[10:11], v[28:29]
	v_fmac_f64_e32 v[32:33], s[12:13], v[24:25]
	v_add_f64 v[26:27], v[30:31], v[26:27]
	v_fmac_f64_e32 v[2:3], s[2:3], v[24:25]
	v_fmac_f64_e32 v[32:33], s[6:7], v[26:27]
	v_fmac_f64_e32 v[2:3], s[6:7], v[26:27]
	v_add_f64 v[26:27], v[16:17], v[12:13]
	v_add_f64 v[132:133], v[34:35], v[132:133]
	v_fma_f64 v[26:27], -0.5, v[26:27], v[4:5]
	s_waitcnt vmcnt(0)
	v_add_f64 v[28:29], v[10:11], -v[22:23]
	v_add_f64 v[132:133], v[38:39], v[132:133]
	v_fma_f64 v[30:31], s[0:1], v[28:29], v[26:27]
	v_add_f64 v[34:35], v[14:15], -v[18:19]
	v_add_f64 v[38:39], v[8:9], -v[12:13]
	v_add_f64 v[134:135], v[20:21], -v[16:17]
	v_fmac_f64_e32 v[26:27], s[10:11], v[28:29]
	v_fmac_f64_e32 v[30:31], s[2:3], v[34:35]
	v_add_f64 v[38:39], v[134:135], v[38:39]
	v_fmac_f64_e32 v[26:27], s[12:13], v[34:35]
	v_fmac_f64_e32 v[30:31], s[6:7], v[38:39]
	;; [unrolled: 1-line block ×3, first 2 shown]
	v_add_f64 v[38:39], v[20:21], v[8:9]
	v_add_f64 v[136:137], v[138:139], v[136:137]
	;; [unrolled: 1-line block ×3, first 2 shown]
	v_fmac_f64_e32 v[4:5], -0.5, v[38:39]
	v_fmac_f64_e32 v[146:147], s[6:7], v[136:137]
	v_fmac_f64_e32 v[0:1], s[6:7], v[136:137]
	v_add_f64 v[24:25], v[12:13], v[24:25]
	v_fma_f64 v[38:39], s[10:11], v[34:35], v[4:5]
	v_add_f64 v[134:135], v[12:13], -v[8:9]
	v_add_f64 v[136:137], v[16:17], -v[20:21]
	v_fmac_f64_e32 v[4:5], s[0:1], v[34:35]
	v_add_f64 v[34:35], v[18:19], v[14:15]
	v_add_f64 v[24:25], v[16:17], v[24:25]
	v_fmac_f64_e32 v[38:39], s[2:3], v[28:29]
	v_add_f64 v[134:135], v[136:137], v[134:135]
	v_fmac_f64_e32 v[4:5], s[12:13], v[28:29]
	v_fma_f64 v[34:35], -0.5, v[34:35], v[6:7]
	v_add_f64 v[8:9], v[8:9], -v[20:21]
	v_add_f64 v[24:25], v[20:21], v[24:25]
	v_fmac_f64_e32 v[38:39], s[6:7], v[134:135]
	v_fmac_f64_e32 v[4:5], s[6:7], v[134:135]
	v_fma_f64 v[20:21], s[10:11], v[8:9], v[34:35]
	v_add_f64 v[12:13], v[12:13], -v[16:17]
	v_add_f64 v[16:17], v[10:11], -v[14:15]
	;; [unrolled: 1-line block ×3, first 2 shown]
	v_fmac_f64_e32 v[34:35], s[0:1], v[8:9]
	v_fmac_f64_e32 v[20:21], s[12:13], v[12:13]
	v_add_f64 v[16:17], v[134:135], v[16:17]
	v_fmac_f64_e32 v[34:35], s[2:3], v[12:13]
	v_fmac_f64_e32 v[20:21], s[6:7], v[16:17]
	;; [unrolled: 1-line block ×3, first 2 shown]
	v_add_f64 v[16:17], v[22:23], v[10:11]
	v_add_f64 v[28:29], v[10:11], v[6:7]
	v_fmac_f64_e32 v[6:7], -0.5, v[16:17]
	v_add_f64 v[28:29], v[14:15], v[28:29]
	v_fma_f64 v[138:139], s[0:1], v[12:13], v[6:7]
	v_add_f64 v[10:11], v[14:15], -v[10:11]
	v_add_f64 v[14:15], v[18:19], -v[22:23]
	v_fmac_f64_e32 v[6:7], s[10:11], v[12:13]
	v_add_f64 v[10:11], v[14:15], v[10:11]
	v_fmac_f64_e32 v[6:7], s[2:3], v[8:9]
	v_add_f64 v[28:29], v[18:19], v[28:29]
	;; [unrolled: 2-line block ×3, first 2 shown]
	v_add_f64 v[122:123], v[122:123], -v[150:151]
	v_add_f64 v[28:29], v[22:23], v[28:29]
	v_mul_f64 v[22:23], v[20:21], s[2:3]
	v_mul_f64 v[150:151], v[6:7], s[0:1]
	v_fmac_f64_e32 v[22:23], s[14:15], v[30:31]
	v_fmac_f64_e32 v[150:151], s[16:17], v[4:5]
	v_mul_f64 v[154:155], v[34:35], s[2:3]
	v_mul_f64 v[30:31], v[30:31], s[12:13]
	v_fmac_f64_e32 v[138:139], s[12:13], v[8:9]
	v_add_f64 v[14:15], v[0:1], v[150:151]
	v_fmac_f64_e32 v[154:155], s[18:19], v[26:27]
	v_fmac_f64_e32 v[30:31], s[14:15], v[20:21]
	v_mul_f64 v[156:157], v[6:7], s[16:17]
	v_add_f64 v[20:21], v[0:1], -v[150:151]
	v_mul_u32_u24_e32 v0, 10, v128
	v_fmac_f64_e32 v[138:139], s[6:7], v[10:11]
	v_add_f64 v[10:11], v[144:145], v[22:23]
	v_add_f64 v[16:17], v[42:43], v[154:155]
	v_fmac_f64_e32 v[156:157], s[10:11], v[4:5]
	v_add_f64 v[4:5], v[144:145], -v[22:23]
	v_add_f64 v[22:23], v[42:43], -v[154:155]
	v_lshl_add_u32 v154, v0, 3, 0
	v_mul_i32_i24_e32 v0, 10, v129
	v_mul_f64 v[148:149], v[138:139], s[0:1]
	v_lshl_add_u32 v131, v0, 3, 0
	v_mul_i32_i24_e32 v0, 10, v127
	s_movk_i32 s20, 0xffb8
	v_fmac_f64_e32 v[148:149], s[6:7], v[38:39]
	v_mul_f64 v[38:39], v[38:39], s[10:11]
	v_mul_f64 v[34:35], v[34:35], s[18:19]
	ds_write_b128 v154, v[84:87]
	ds_write_b128 v154, v[88:91] offset:16
	ds_write_b128 v154, v[92:95] offset:32
	;; [unrolled: 1-line block ×4, first 2 shown]
	ds_write_b128 v131, v[72:75]
	ds_write_b128 v131, v[104:107] offset:16
	ds_write_b128 v131, v[108:111] offset:32
	ds_write_b128 v131, v[44:47] offset:48
	ds_write_b128 v131, v[120:123] offset:64
	v_lshl_add_u32 v121, v0, 3, 0
	v_mad_i32_i24 v122, v128, s20, v154
	v_add_f64 v[8:9], v[24:25], v[40:41]
	v_add_f64 v[12:13], v[146:147], v[148:149]
	;; [unrolled: 1-line block ×3, first 2 shown]
	v_fmac_f64_e32 v[38:39], s[6:7], v[138:139]
	v_fmac_f64_e32 v[34:35], s[12:13], v[26:27]
	v_add_f64 v[18:19], v[40:41], -v[24:25]
	v_add_f64 v[6:7], v[146:147], -v[148:149]
	v_add_f64 v[144:145], v[132:133], -v[28:29]
	v_add_u32_e32 v106, 0x1400, v122
	v_add_u32_e32 v93, 0x1c00, v122
	;; [unrolled: 1-line block ×8, first 2 shown]
	v_mad_i32_i24 v132, v129, s20, v131
	v_add_u32_e32 v109, 0xc00, v122
	v_add_u32_e32 v108, 0x2400, v122
	;; [unrolled: 1-line block ×5, first 2 shown]
	v_mad_i32_i24 v133, v127, s20, v121
	s_movk_i32 s20, 0xcd
	v_add_f64 v[136:137], v[36:37], v[30:31]
	v_add_f64 v[138:139], v[32:33], v[38:39]
	;; [unrolled: 1-line block ×4, first 2 shown]
	v_add_f64 v[146:147], v[36:37], -v[30:31]
	v_add_f64 v[148:149], v[32:33], -v[38:39]
	v_add_f64 v[150:151], v[2:3], -v[156:157]
	v_add_f64 v[152:153], v[152:153], -v[34:35]
	ds_write_b128 v121, v[8:11]
	ds_write_b128 v121, v[12:15] offset:16
	ds_write_b128 v121, v[16:19] offset:32
	;; [unrolled: 1-line block ×4, first 2 shown]
	s_waitcnt lgkmcnt(0)
	s_barrier
	v_lshl_add_u32 v123, v126, 3, 0
	ds_read2_b64 v[72:75], v106 offset0:80 offset1:200
	ds_read2_b64 v[24:27], v93 offset0:64 offset1:184
	;; [unrolled: 1-line block ×13, first 2 shown]
	ds_read_b64 v[88:89], v122
	ds_read_b64 v[90:91], v123
	;; [unrolled: 1-line block ×4, first 2 shown]
	s_waitcnt lgkmcnt(0)
	s_barrier
	ds_write_b128 v154, v[48:51]
	ds_write_b128 v154, v[52:55] offset:16
	ds_write_b128 v154, v[56:59] offset:32
	ds_write_b128 v154, v[60:63] offset:48
	ds_write_b128 v154, v[64:67] offset:64
	ds_write_b128 v131, v[68:71]
	ds_write_b128 v131, v[76:79] offset:16
	ds_write_b128 v131, v[80:83] offset:32
	ds_write_b128 v131, v[96:99] offset:48
	ds_write_b128 v131, v[100:103] offset:64
	;; [unrolled: 5-line block ×3, first 2 shown]
	v_mul_lo_u16_sdwa v48, v128, s20 dst_sel:DWORD dst_unused:UNUSED_PAD src0_sel:BYTE_0 src1_sel:DWORD
	v_lshrrev_b16_e32 v134, 11, v48
	v_mul_lo_u16_e32 v48, 10, v134
	v_sub_u16_e32 v135, v128, v48
	v_mov_b32_e32 v52, 9
	v_mul_u32_u24_sdwa v48, v135, v52 dst_sel:DWORD dst_unused:UNUSED_PAD src0_sel:BYTE_0 src1_sel:DWORD
	v_lshlrev_b32_e32 v56, 4, v48
	s_waitcnt lgkmcnt(0)
	s_barrier
	global_load_dwordx4 v[48:51], v56, s[4:5] offset:16
	global_load_dwordx4 v[66:69], v56, s[4:5] offset:48
	v_mul_lo_u16_sdwa v53, v129, s20 dst_sel:DWORD dst_unused:UNUSED_PAD src0_sel:BYTE_0 src1_sel:DWORD
	v_lshrrev_b16_e32 v136, 11, v53
	v_mul_lo_u16_e32 v53, 10, v136
	v_sub_u16_e32 v137, v129, v53
	v_mul_u32_u24_sdwa v52, v137, v52 dst_sel:DWORD dst_unused:UNUSED_PAD src0_sel:BYTE_0 src1_sel:DWORD
	v_lshlrev_b32_e32 v57, 4, v52
	global_load_dwordx4 v[76:79], v57, s[4:5] offset:16
	global_load_dwordx4 v[80:83], v57, s[4:5] offset:48
	;; [unrolled: 1-line block ×6, first 2 shown]
	global_load_dwordx4 v[144:147], v57, s[4:5]
	s_mov_b32 s20, 0xcccd
	v_mul_u32_u24_sdwa v52, v127, s20 dst_sel:DWORD dst_unused:UNUSED_PAD src0_sel:WORD_0 src1_sel:DWORD
	v_lshrrev_b32_e32 v138, 19, v52
	v_mul_lo_u16_e32 v52, 10, v138
	v_sub_u16_e32 v139, v127, v52
	v_mul_u32_u24_e32 v52, 9, v139
	v_lshlrev_b32_e32 v184, 4, v52
	global_load_dwordx4 v[148:151], v184, s[4:5]
	global_load_dwordx4 v[152:155], v56, s[4:5] offset:32
	global_load_dwordx4 v[156:159], v184, s[4:5] offset:16
	ds_read2_b64 v[164:167], v107 offset0:32 offset1:152
	ds_read2_b64 v[100:103], v106 offset0:80 offset1:200
	global_load_dwordx4 v[160:163], v57, s[4:5] offset:32
	global_load_dwordx4 v[172:175], v57, s[4:5] offset:64
	global_load_dwordx4 v[52:55], v56, s[4:5]
	global_load_dwordx4 v[168:171], v56, s[4:5] offset:64
	global_load_dwordx4 v[176:179], v57, s[4:5] offset:128
	s_waitcnt vmcnt(16) lgkmcnt(0)
	v_mul_f64 v[62:63], v[100:101], v[50:51]
	s_waitcnt vmcnt(15)
	v_mul_f64 v[64:65], v[164:165], v[68:69]
	v_mul_f64 v[50:51], v[72:73], v[50:51]
	v_fmac_f64_e32 v[64:65], v[44:45], v[66:67]
	v_mul_f64 v[44:45], v[44:45], v[68:69]
	v_fmac_f64_e32 v[62:63], v[72:73], v[48:49]
	v_fma_f64 v[58:59], v[100:101], v[48:49], -v[50:51]
	v_fma_f64 v[60:61], v[164:165], v[66:67], -v[44:45]
	s_waitcnt vmcnt(14)
	v_mul_f64 v[48:49], v[102:103], v[78:79]
	v_mul_f64 v[44:45], v[74:75], v[78:79]
	ds_read2_b64 v[70:73], v118 offset0:112 offset1:232
	v_fmac_f64_e32 v[48:49], v[74:75], v[76:77]
	v_fma_f64 v[44:45], v[102:103], v[76:77], -v[44:45]
	ds_read2_b64 v[74:77], v119 offset0:64 offset1:184
	s_waitcnt vmcnt(13)
	v_mul_f64 v[50:51], v[166:167], v[82:83]
	s_waitcnt vmcnt(12) lgkmcnt(1)
	v_mul_f64 v[68:69], v[70:71], v[98:99]
	v_fmac_f64_e32 v[68:69], v[40:41], v[96:97]
	v_mul_f64 v[40:41], v[40:41], v[98:99]
	s_waitcnt vmcnt(10) lgkmcnt(0)
	v_mul_f64 v[180:181], v[74:75], v[116:117]
	v_fmac_f64_e32 v[50:51], v[46:47], v[80:81]
	v_mul_f64 v[46:47], v[46:47], v[82:83]
	v_fma_f64 v[66:67], v[70:71], v[96:97], -v[40:41]
	v_mul_f64 v[40:41], v[42:43], v[112:113]
	v_fmac_f64_e32 v[180:181], v[36:37], v[114:115]
	v_mul_f64 v[36:37], v[36:37], v[116:117]
	s_waitcnt vmcnt(9)
	v_mul_f64 v[106:107], v[76:77], v[142:143]
	v_fma_f64 v[46:47], v[166:167], v[80:81], -v[46:47]
	v_fma_f64 v[82:83], v[72:73], v[110:111], -v[40:41]
	;; [unrolled: 1-line block ×3, first 2 shown]
	v_fmac_f64_e32 v[106:107], v[38:39], v[140:141]
	v_mul_f64 v[40:41], v[38:39], v[142:143]
	ds_read2_b64 v[36:39], v109 offset0:96 offset1:216
	global_load_dwordx4 v[78:81], v184, s[4:5] offset:32
	v_fma_f64 v[98:99], v[76:77], v[140:141], -v[40:41]
	global_load_dwordx4 v[140:143], v184, s[4:5] offset:48
	v_mul_f64 v[100:101], v[72:73], v[112:113]
	s_waitcnt vmcnt(10) lgkmcnt(0)
	v_mul_f64 v[40:41], v[36:37], v[146:147]
	v_fmac_f64_e32 v[40:41], v[32:33], v[144:145]
	v_mul_f64 v[32:33], v[32:33], v[146:147]
	v_fmac_f64_e32 v[100:101], v[42:43], v[110:111]
	v_fma_f64 v[42:43], v[36:37], v[144:145], -v[32:33]
	s_waitcnt vmcnt(9)
	v_mul_f64 v[32:33], v[38:39], v[150:151]
	v_fmac_f64_e32 v[32:33], v[34:35], v[148:149]
	v_mul_f64 v[34:35], v[34:35], v[150:151]
	global_load_dwordx4 v[144:147], v184, s[4:5] offset:64
	global_load_dwordx4 v[110:113], v56, s[4:5] offset:96
	global_load_dwordx4 v[114:117], v56, s[4:5] offset:128
	v_fma_f64 v[34:35], v[38:39], v[148:149], -v[34:35]
	global_load_dwordx4 v[148:151], v184, s[4:5] offset:80
	ds_read2_b64 v[36:39], v93 offset0:64 offset1:184
	global_load_dwordx4 v[164:167], v57, s[4:5] offset:96
	s_waitcnt vmcnt(13) lgkmcnt(0)
	v_mul_f64 v[72:73], v[38:39], v[154:155]
	v_fmac_f64_e32 v[72:73], v[26:27], v[152:153]
	v_mul_f64 v[26:27], v[26:27], v[154:155]
	v_fma_f64 v[70:71], v[38:39], v[152:153], -v[26:27]
	s_waitcnt vmcnt(12)
	v_mul_f64 v[38:39], v[36:37], v[158:159]
	ds_read2_b64 v[152:155], v108 offset0:48 offset1:168
	v_fmac_f64_e32 v[38:39], v[24:25], v[156:157]
	v_mul_f64 v[24:25], v[24:25], v[158:159]
	v_fma_f64 v[36:37], v[36:37], v[156:157], -v[24:25]
	ds_read2_b64 v[156:159], v92 offset0:16 offset1:136
	s_waitcnt vmcnt(11)
	v_mul_f64 v[24:25], v[28:29], v[162:163]
	s_waitcnt lgkmcnt(1)
	v_fma_f64 v[56:57], v[152:153], v[160:161], -v[24:25]
	v_mul_f64 v[74:75], v[152:153], v[162:163]
	v_fmac_f64_e32 v[74:75], v[28:29], v[160:161]
	s_waitcnt vmcnt(8) lgkmcnt(0)
	v_mul_f64 v[92:93], v[158:159], v[170:171]
	v_fmac_f64_e32 v[92:93], v[22:23], v[168:169]
	v_mul_f64 v[22:23], v[22:23], v[170:171]
	s_waitcnt vmcnt(6)
	v_mul_f64 v[24:25], v[30:31], v[80:81]
	v_mul_f64 v[26:27], v[154:155], v[80:81]
	v_fma_f64 v[24:25], v[154:155], v[78:79], -v[24:25]
	ds_read2_b64 v[152:155], v120 offset0:128 offset1:248
	s_waitcnt vmcnt(5)
	v_mul_f64 v[28:29], v[156:157], v[142:143]
	v_fmac_f64_e32 v[28:29], v[20:21], v[140:141]
	v_mul_f64 v[20:21], v[20:21], v[142:143]
	v_fmac_f64_e32 v[26:27], v[30:31], v[78:79]
	v_fma_f64 v[78:79], v[158:159], v[168:169], -v[22:23]
	v_fma_f64 v[22:23], v[156:157], v[140:141], -v[20:21]
	global_load_dwordx4 v[140:143], v184, s[4:5] offset:96
	global_load_dwordx4 v[156:159], v184, s[4:5] offset:112
	ds_read2_b64 v[160:163], v104 offset0:96 offset1:216
	s_waitcnt lgkmcnt(1)
	v_mul_f64 v[80:81], v[152:153], v[174:175]
	v_fmac_f64_e32 v[80:81], v[16:17], v[172:173]
	v_mul_f64 v[16:17], v[16:17], v[174:175]
	v_fma_f64 v[30:31], v[152:153], v[172:173], -v[16:17]
	s_waitcnt vmcnt(6)
	v_mul_f64 v[20:21], v[154:155], v[146:147]
	v_mul_f64 v[16:17], v[18:19], v[146:147]
	v_fmac_f64_e32 v[20:21], v[18:19], v[144:145]
	v_fma_f64 v[16:17], v[154:155], v[144:145], -v[16:17]
	s_waitcnt vmcnt(5) lgkmcnt(0)
	v_mul_f64 v[144:145], v[162:163], v[112:113]
	s_waitcnt vmcnt(3)
	v_mul_f64 v[18:19], v[160:161], v[150:151]
	v_fmac_f64_e32 v[144:145], v[14:15], v[110:111]
	v_mul_f64 v[14:15], v[14:15], v[112:113]
	v_fmac_f64_e32 v[18:19], v[12:13], v[148:149]
	v_mul_f64 v[12:13], v[12:13], v[150:151]
	ds_read2_b64 v[102:105], v105 offset0:48 offset1:168
	v_fma_f64 v[146:147], v[162:163], v[110:111], -v[14:15]
	v_fma_f64 v[14:15], v[160:161], v[148:149], -v[12:13]
	ds_read_b64 v[96:97], v123
	ds_read2_b64 v[108:111], v95 offset0:80 offset1:200
	ds_read_b64 v[76:77], v132
	ds_read_b64 v[12:13], v133
	;; [unrolled: 1-line block ×3, first 2 shown]
	s_waitcnt lgkmcnt(4)
	v_mul_f64 v[150:151], v[96:97], v[54:55]
	v_mul_f64 v[54:55], v[90:91], v[54:55]
	v_fmac_f64_e32 v[150:151], v[90:91], v[52:53]
	v_fma_f64 v[152:153], v[96:97], v[52:53], -v[54:55]
	ds_read2_b64 v[52:55], v94 offset0:32 offset1:152
	global_load_dwordx4 v[94:97], v184, s[4:5] offset:128
	v_mul_f64 v[90:91], v[104:105], v[116:117]
	v_fmac_f64_e32 v[90:91], v[6:7], v[114:115]
	v_mul_f64 v[6:7], v[6:7], v[116:117]
	s_waitcnt lgkmcnt(0)
	v_mul_f64 v[118:119], v[52:53], v[178:179]
	v_fma_f64 v[104:105], v[104:105], v[114:115], -v[6:7]
	s_waitcnt vmcnt(3)
	v_mul_f64 v[6:7], v[8:9], v[166:167]
	v_fmac_f64_e32 v[118:119], v[0:1], v[176:177]
	v_mul_f64 v[0:1], v[0:1], v[178:179]
	v_fma_f64 v[112:113], v[108:109], v[164:165], -v[6:7]
	v_fma_f64 v[114:115], v[52:53], v[176:177], -v[0:1]
	v_add_f64 v[52:53], v[88:89], v[62:63]
	v_add_f64 v[52:53], v[52:53], v[64:65]
	v_mul_f64 v[116:117], v[108:109], v[166:167]
	v_add_f64 v[52:53], v[52:53], v[68:69]
	v_fmac_f64_e32 v[116:117], v[8:9], v[164:165]
	s_barrier
	s_waitcnt vmcnt(2)
	v_mul_f64 v[6:7], v[110:111], v[142:143]
	v_fmac_f64_e32 v[6:7], v[10:11], v[140:141]
	v_mul_f64 v[0:1], v[10:11], v[142:143]
	s_waitcnt vmcnt(1)
	v_mul_f64 v[10:11], v[102:103], v[158:159]
	v_fmac_f64_e32 v[10:11], v[4:5], v[156:157]
	v_mul_f64 v[4:5], v[4:5], v[158:159]
	v_fma_f64 v[8:9], v[102:103], v[156:157], -v[4:5]
	v_add_f64 v[102:103], v[52:53], v[180:181]
	v_add_f64 v[52:53], v[64:65], v[68:69]
	v_fma_f64 v[0:1], v[110:111], v[140:141], -v[0:1]
	v_fma_f64 v[110:111], -0.5, v[52:53], v[88:89]
	v_add_f64 v[52:53], v[58:59], -v[182:183]
	v_fma_f64 v[108:109], s[0:1], v[52:53], v[110:111]
	v_fmac_f64_e32 v[110:111], s[10:11], v[52:53]
	s_waitcnt vmcnt(0)
	v_mul_f64 v[4:5], v[54:55], v[96:97]
	v_fmac_f64_e32 v[4:5], v[2:3], v[94:95]
	v_mul_f64 v[2:3], v[2:3], v[96:97]
	v_fma_f64 v[2:3], v[54:55], v[94:95], -v[2:3]
	v_add_f64 v[54:55], v[60:61], -v[66:67]
	v_add_f64 v[94:95], v[62:63], -v[64:65]
	;; [unrolled: 1-line block ×3, first 2 shown]
	v_fmac_f64_e32 v[108:109], s[2:3], v[54:55]
	v_add_f64 v[94:95], v[94:95], v[96:97]
	v_fmac_f64_e32 v[110:111], s[12:13], v[54:55]
	v_fmac_f64_e32 v[108:109], s[6:7], v[94:95]
	;; [unrolled: 1-line block ×3, first 2 shown]
	v_add_f64 v[94:95], v[62:63], v[180:181]
	v_fmac_f64_e32 v[88:89], -0.5, v[94:95]
	v_fma_f64 v[140:141], s[10:11], v[54:55], v[88:89]
	v_fmac_f64_e32 v[88:89], s[0:1], v[54:55]
	v_fmac_f64_e32 v[140:141], s[2:3], v[52:53]
	;; [unrolled: 1-line block ×3, first 2 shown]
	v_add_f64 v[52:53], v[148:149], v[58:59]
	v_add_f64 v[52:53], v[52:53], v[60:61]
	;; [unrolled: 1-line block ×5, first 2 shown]
	v_fma_f64 v[154:155], -0.5, v[52:53], v[148:149]
	v_add_f64 v[52:53], v[62:63], -v[180:181]
	v_add_f64 v[94:95], v[64:65], -v[62:63]
	v_fma_f64 v[156:157], s[10:11], v[52:53], v[154:155]
	v_add_f64 v[54:55], v[64:65], -v[68:69]
	v_add_f64 v[62:63], v[58:59], -v[60:61]
	;; [unrolled: 1-line block ×3, first 2 shown]
	v_fmac_f64_e32 v[154:155], s[0:1], v[52:53]
	v_fmac_f64_e32 v[156:157], s[12:13], v[54:55]
	v_add_f64 v[62:63], v[62:63], v[64:65]
	v_fmac_f64_e32 v[154:155], s[2:3], v[54:55]
	v_fmac_f64_e32 v[156:157], s[6:7], v[62:63]
	;; [unrolled: 1-line block ×3, first 2 shown]
	v_add_f64 v[62:63], v[58:59], v[182:183]
	v_fmac_f64_e32 v[148:149], -0.5, v[62:63]
	v_add_f64 v[96:97], v[68:69], -v[180:181]
	v_fma_f64 v[68:69], s[0:1], v[54:55], v[148:149]
	v_fmac_f64_e32 v[148:149], s[10:11], v[54:55]
	v_fmac_f64_e32 v[68:69], s[12:13], v[52:53]
	;; [unrolled: 1-line block ×3, first 2 shown]
	v_add_f64 v[52:53], v[150:151], v[72:73]
	v_add_f64 v[52:53], v[52:53], v[92:93]
	;; [unrolled: 1-line block ×3, first 2 shown]
	v_add_f64 v[58:59], v[60:61], -v[58:59]
	v_add_f64 v[60:61], v[66:67], -v[182:183]
	v_add_f64 v[64:65], v[52:53], v[90:91]
	v_add_f64 v[52:53], v[92:93], v[144:145]
	;; [unrolled: 1-line block ×3, first 2 shown]
	v_fma_f64 v[62:63], -0.5, v[52:53], v[150:151]
	v_add_f64 v[52:53], v[70:71], -v[104:105]
	v_fmac_f64_e32 v[68:69], s[6:7], v[58:59]
	v_fmac_f64_e32 v[148:149], s[6:7], v[58:59]
	v_fma_f64 v[54:55], s[0:1], v[52:53], v[62:63]
	v_add_f64 v[58:59], v[78:79], -v[146:147]
	v_add_f64 v[60:61], v[72:73], -v[92:93]
	;; [unrolled: 1-line block ×3, first 2 shown]
	v_fmac_f64_e32 v[62:63], s[10:11], v[52:53]
	v_fmac_f64_e32 v[54:55], s[2:3], v[58:59]
	v_add_f64 v[60:61], v[60:61], v[66:67]
	v_fmac_f64_e32 v[62:63], s[12:13], v[58:59]
	v_fmac_f64_e32 v[54:55], s[6:7], v[60:61]
	;; [unrolled: 1-line block ×3, first 2 shown]
	v_add_f64 v[60:61], v[72:73], v[90:91]
	v_fmac_f64_e32 v[150:151], -0.5, v[60:61]
	v_fma_f64 v[60:61], s[10:11], v[58:59], v[150:151]
	v_fmac_f64_e32 v[150:151], s[0:1], v[58:59]
	v_add_f64 v[94:95], v[94:95], v[96:97]
	v_fmac_f64_e32 v[60:61], s[2:3], v[52:53]
	v_fmac_f64_e32 v[150:151], s[12:13], v[52:53]
	v_add_f64 v[52:53], v[152:153], v[70:71]
	v_fmac_f64_e32 v[140:141], s[6:7], v[94:95]
	v_fmac_f64_e32 v[88:89], s[6:7], v[94:95]
	v_add_f64 v[66:67], v[92:93], -v[72:73]
	v_add_f64 v[94:95], v[144:145], -v[90:91]
	v_add_f64 v[52:53], v[52:53], v[78:79]
	v_add_f64 v[66:67], v[66:67], v[94:95]
	;; [unrolled: 1-line block ×3, first 2 shown]
	v_fmac_f64_e32 v[60:61], s[6:7], v[66:67]
	v_fmac_f64_e32 v[150:151], s[6:7], v[66:67]
	v_add_f64 v[66:67], v[52:53], v[104:105]
	v_add_f64 v[52:53], v[78:79], v[146:147]
	v_fma_f64 v[158:159], -0.5, v[52:53], v[152:153]
	v_add_f64 v[52:53], v[72:73], -v[90:91]
	v_fma_f64 v[58:59], s[10:11], v[52:53], v[158:159]
	v_add_f64 v[72:73], v[92:93], -v[144:145]
	v_add_f64 v[90:91], v[70:71], -v[78:79]
	v_add_f64 v[92:93], v[104:105], -v[146:147]
	v_fmac_f64_e32 v[158:159], s[0:1], v[52:53]
	v_fmac_f64_e32 v[58:59], s[12:13], v[72:73]
	v_add_f64 v[90:91], v[90:91], v[92:93]
	v_fmac_f64_e32 v[158:159], s[2:3], v[72:73]
	v_fmac_f64_e32 v[58:59], s[6:7], v[90:91]
	;; [unrolled: 1-line block ×3, first 2 shown]
	v_add_f64 v[90:91], v[70:71], v[104:105]
	v_fmac_f64_e32 v[152:153], -0.5, v[90:91]
	v_fma_f64 v[144:145], s[0:1], v[72:73], v[152:153]
	v_add_f64 v[70:71], v[78:79], -v[70:71]
	v_add_f64 v[78:79], v[146:147], -v[104:105]
	v_fmac_f64_e32 v[152:153], s[10:11], v[72:73]
	v_fmac_f64_e32 v[144:145], s[12:13], v[52:53]
	v_add_f64 v[70:71], v[70:71], v[78:79]
	v_fmac_f64_e32 v[152:153], s[2:3], v[52:53]
	v_fmac_f64_e32 v[144:145], s[6:7], v[70:71]
	;; [unrolled: 1-line block ×3, first 2 shown]
	v_mul_f64 v[72:73], v[144:145], s[0:1]
	v_mul_f64 v[146:147], v[152:153], s[0:1]
	;; [unrolled: 1-line block ×4, first 2 shown]
	v_add_f64 v[78:79], v[102:103], v[64:65]
	v_mul_f64 v[70:71], v[58:59], s[2:3]
	v_fmac_f64_e32 v[146:147], s[16:17], v[150:151]
	v_add_f64 v[52:53], v[142:143], v[66:67]
	v_fmac_f64_e32 v[144:145], s[10:11], v[60:61]
	v_fmac_f64_e32 v[152:153], s[10:11], v[150:151]
	v_mul_f64 v[150:151], v[158:159], s[18:19]
	v_add_f64 v[102:103], v[102:103], -v[64:65]
	v_add_f64 v[64:65], v[142:143], -v[66:67]
	v_add_f64 v[142:143], v[50:51], v[100:101]
	v_fmac_f64_e32 v[70:71], s[14:15], v[54:55]
	v_fmac_f64_e32 v[72:73], s[6:7], v[60:61]
	v_mul_f64 v[160:161], v[158:159], s[2:3]
	v_mul_f64 v[162:163], v[58:59], s[14:15]
	v_add_f64 v[58:59], v[68:69], v[144:145]
	v_fmac_f64_e32 v[150:151], s[12:13], v[62:63]
	v_add_f64 v[68:69], v[68:69], -v[144:145]
	v_fma_f64 v[142:143], -0.5, v[142:143], v[86:87]
	v_add_f64 v[144:145], v[44:45], -v[98:99]
	v_add_f64 v[90:91], v[108:109], v[70:71]
	v_add_f64 v[92:93], v[140:141], v[72:73]
	;; [unrolled: 1-line block ×3, first 2 shown]
	v_fmac_f64_e32 v[160:161], s[18:19], v[62:63]
	v_add_f64 v[60:61], v[148:149], v[152:153]
	v_add_f64 v[62:63], v[154:155], v[150:151]
	v_add_f64 v[104:105], v[108:109], -v[70:71]
	v_add_f64 v[108:109], v[140:141], -v[72:73]
	;; [unrolled: 1-line block ×5, first 2 shown]
	v_fma_f64 v[146:147], s[0:1], v[144:145], v[142:143]
	v_add_f64 v[148:149], v[46:47], -v[82:83]
	v_add_f64 v[150:151], v[48:49], -v[50:51]
	;; [unrolled: 1-line block ×3, first 2 shown]
	v_fmac_f64_e32 v[142:143], s[10:11], v[144:145]
	v_fmac_f64_e32 v[146:147], s[2:3], v[148:149]
	v_add_f64 v[150:151], v[150:151], v[152:153]
	v_fmac_f64_e32 v[142:143], s[12:13], v[148:149]
	v_fmac_f64_e32 v[146:147], s[6:7], v[150:151]
	;; [unrolled: 1-line block ×3, first 2 shown]
	v_add_f64 v[150:151], v[48:49], v[106:107]
	v_add_f64 v[140:141], v[86:87], v[48:49]
	v_fmac_f64_e32 v[86:87], -0.5, v[150:151]
	v_add_f64 v[140:141], v[140:141], v[50:51]
	v_fma_f64 v[150:151], s[10:11], v[148:149], v[86:87]
	v_add_f64 v[152:153], v[50:51], -v[48:49]
	v_add_f64 v[154:155], v[100:101], -v[106:107]
	v_fmac_f64_e32 v[86:87], s[0:1], v[148:149]
	v_add_f64 v[148:149], v[46:47], v[82:83]
	v_add_f64 v[140:141], v[140:141], v[100:101]
	v_fmac_f64_e32 v[150:151], s[2:3], v[144:145]
	v_add_f64 v[152:153], v[152:153], v[154:155]
	v_fmac_f64_e32 v[86:87], s[12:13], v[144:145]
	v_fma_f64 v[148:149], -0.5, v[148:149], v[76:77]
	v_add_f64 v[48:49], v[48:49], -v[106:107]
	v_add_f64 v[140:141], v[140:141], v[106:107]
	v_fmac_f64_e32 v[150:151], s[6:7], v[152:153]
	v_fmac_f64_e32 v[86:87], s[6:7], v[152:153]
	v_fma_f64 v[106:107], s[10:11], v[48:49], v[148:149]
	v_add_f64 v[50:51], v[50:51], -v[100:101]
	v_add_f64 v[100:101], v[44:45], -v[46:47]
	;; [unrolled: 1-line block ×3, first 2 shown]
	v_fmac_f64_e32 v[148:149], s[0:1], v[48:49]
	v_fmac_f64_e32 v[106:107], s[12:13], v[50:51]
	v_add_f64 v[100:101], v[100:101], v[152:153]
	v_fmac_f64_e32 v[148:149], s[2:3], v[50:51]
	v_add_f64 v[144:145], v[76:77], v[44:45]
	v_fmac_f64_e32 v[106:107], s[6:7], v[100:101]
	v_fmac_f64_e32 v[148:149], s[6:7], v[100:101]
	v_add_f64 v[100:101], v[44:45], v[98:99]
	v_add_f64 v[144:145], v[144:145], v[46:47]
	v_fmac_f64_e32 v[76:77], -0.5, v[100:101]
	v_add_f64 v[44:45], v[46:47], -v[44:45]
	v_add_f64 v[46:47], v[82:83], -v[98:99]
	v_fma_f64 v[100:101], s[0:1], v[50:51], v[76:77]
	v_add_f64 v[44:45], v[44:45], v[46:47]
	v_fmac_f64_e32 v[76:77], s[10:11], v[50:51]
	v_add_f64 v[46:47], v[80:81], v[116:117]
	v_add_f64 v[144:145], v[144:145], v[82:83]
	v_fmac_f64_e32 v[100:101], s[12:13], v[48:49]
	v_fmac_f64_e32 v[76:77], s[2:3], v[48:49]
	v_fma_f64 v[46:47], -0.5, v[46:47], v[40:41]
	v_add_f64 v[48:49], v[56:57], -v[114:115]
	v_add_f64 v[144:145], v[144:145], v[98:99]
	v_fma_f64 v[50:51], s[0:1], v[48:49], v[46:47]
	v_add_f64 v[82:83], v[30:31], -v[112:113]
	v_add_f64 v[98:99], v[74:75], -v[80:81]
	;; [unrolled: 1-line block ×3, first 2 shown]
	v_fmac_f64_e32 v[46:47], s[10:11], v[48:49]
	v_fmac_f64_e32 v[50:51], s[2:3], v[82:83]
	v_add_f64 v[98:99], v[98:99], v[152:153]
	v_fmac_f64_e32 v[46:47], s[12:13], v[82:83]
	v_fmac_f64_e32 v[50:51], s[6:7], v[98:99]
	;; [unrolled: 1-line block ×3, first 2 shown]
	v_add_f64 v[98:99], v[74:75], v[118:119]
	v_fmac_f64_e32 v[100:101], s[6:7], v[44:45]
	v_fmac_f64_e32 v[76:77], s[6:7], v[44:45]
	v_add_f64 v[44:45], v[40:41], v[74:75]
	v_fmac_f64_e32 v[40:41], -0.5, v[98:99]
	v_fma_f64 v[98:99], s[10:11], v[82:83], v[40:41]
	v_fmac_f64_e32 v[40:41], s[0:1], v[82:83]
	v_fmac_f64_e32 v[98:99], s[2:3], v[48:49]
	;; [unrolled: 1-line block ×3, first 2 shown]
	v_add_f64 v[48:49], v[42:43], v[56:57]
	v_add_f64 v[48:49], v[48:49], v[30:31]
	v_add_f64 v[152:153], v[80:81], -v[74:75]
	v_add_f64 v[154:155], v[116:117], -v[118:119]
	v_add_f64 v[48:49], v[48:49], v[112:113]
	v_add_f64 v[44:45], v[44:45], v[80:81]
	;; [unrolled: 1-line block ×6, first 2 shown]
	v_fmac_f64_e32 v[98:99], s[6:7], v[152:153]
	v_fmac_f64_e32 v[40:41], s[6:7], v[152:153]
	v_fma_f64 v[152:153], -0.5, v[48:49], v[42:43]
	v_add_f64 v[48:49], v[74:75], -v[118:119]
	v_add_f64 v[44:45], v[44:45], v[118:119]
	v_fma_f64 v[74:75], s[10:11], v[48:49], v[152:153]
	v_add_f64 v[80:81], v[80:81], -v[116:117]
	v_add_f64 v[116:117], v[56:57], -v[30:31]
	v_add_f64 v[118:119], v[114:115], -v[112:113]
	v_fmac_f64_e32 v[152:153], s[0:1], v[48:49]
	v_fmac_f64_e32 v[74:75], s[12:13], v[80:81]
	v_add_f64 v[116:117], v[116:117], v[118:119]
	v_fmac_f64_e32 v[152:153], s[2:3], v[80:81]
	v_fmac_f64_e32 v[74:75], s[6:7], v[116:117]
	;; [unrolled: 1-line block ×3, first 2 shown]
	v_add_f64 v[116:117], v[56:57], v[114:115]
	v_fmac_f64_e32 v[42:43], -0.5, v[116:117]
	v_fma_f64 v[116:117], s[0:1], v[80:81], v[42:43]
	v_add_f64 v[30:31], v[30:31], -v[56:57]
	v_add_f64 v[56:57], v[112:113], -v[114:115]
	v_fmac_f64_e32 v[42:43], s[10:11], v[80:81]
	v_add_f64 v[30:31], v[30:31], v[56:57]
	v_fmac_f64_e32 v[42:43], s[2:3], v[48:49]
	v_fmac_f64_e32 v[162:163], s[12:13], v[54:55]
	;; [unrolled: 1-line block ×4, first 2 shown]
	v_add_f64 v[54:55], v[156:157], v[162:163]
	v_add_f64 v[66:67], v[156:157], -v[162:163]
	v_fmac_f64_e32 v[116:117], s[6:7], v[30:31]
	v_mul_f64 v[156:157], v[42:43], s[0:1]
	v_mul_f64 v[42:43], v[42:43], s[16:17]
	;; [unrolled: 1-line block ×3, first 2 shown]
	v_fmac_f64_e32 v[42:43], s[10:11], v[40:41]
	v_add_f64 v[96:97], v[110:111], v[160:161]
	v_add_f64 v[110:111], v[110:111], -v[160:161]
	v_mul_f64 v[112:113], v[74:75], s[2:3]
	v_fmac_f64_e32 v[114:115], s[6:7], v[98:99]
	v_mul_f64 v[160:161], v[152:153], s[2:3]
	v_mul_f64 v[164:165], v[74:75], s[14:15]
	;; [unrolled: 1-line block ×3, first 2 shown]
	v_add_f64 v[74:75], v[76:77], v[42:43]
	v_add_f64 v[76:77], v[76:77], -v[42:43]
	v_add_f64 v[42:43], v[28:29], v[18:19]
	v_fmac_f64_e32 v[112:113], s[14:15], v[50:51]
	v_add_f64 v[154:155], v[150:151], v[114:115]
	v_fmac_f64_e32 v[156:157], s[16:17], v[40:41]
	v_fmac_f64_e32 v[160:161], s[18:19], v[46:47]
	;; [unrolled: 1-line block ×3, first 2 shown]
	v_mul_f64 v[40:41], v[152:153], s[18:19]
	v_add_f64 v[98:99], v[150:151], -v[114:115]
	v_fma_f64 v[42:43], -0.5, v[42:43], v[84:85]
	v_add_f64 v[114:115], v[36:37], -v[8:9]
	v_add_f64 v[30:31], v[140:141], v[44:45]
	v_add_f64 v[118:119], v[146:147], v[112:113]
	;; [unrolled: 1-line block ×5, first 2 shown]
	v_fmac_f64_e32 v[40:41], s[12:13], v[46:47]
	v_add_f64 v[44:45], v[140:141], -v[44:45]
	v_add_f64 v[46:47], v[146:147], -v[112:113]
	v_add_f64 v[140:141], v[142:143], -v[160:161]
	v_add_f64 v[82:83], v[144:145], -v[82:83]
	v_add_f64 v[100:101], v[100:101], -v[116:117]
	v_fma_f64 v[116:117], s[0:1], v[114:115], v[42:43]
	v_add_f64 v[142:143], v[22:23], -v[14:15]
	v_add_f64 v[144:145], v[38:39], -v[28:29]
	;; [unrolled: 1-line block ×3, first 2 shown]
	v_fmac_f64_e32 v[42:43], s[10:11], v[114:115]
	v_fmac_f64_e32 v[164:165], s[12:13], v[50:51]
	;; [unrolled: 1-line block ×3, first 2 shown]
	v_add_f64 v[144:145], v[144:145], v[146:147]
	v_fmac_f64_e32 v[42:43], s[12:13], v[142:143]
	v_add_f64 v[158:159], v[86:87], v[156:157]
	v_add_f64 v[50:51], v[106:107], v[164:165]
	;; [unrolled: 1-line block ×3, first 2 shown]
	v_add_f64 v[112:113], v[86:87], -v[156:157]
	v_add_f64 v[86:87], v[106:107], -v[164:165]
	;; [unrolled: 1-line block ×3, first 2 shown]
	v_add_f64 v[40:41], v[84:85], v[38:39]
	v_fmac_f64_e32 v[116:117], s[6:7], v[144:145]
	v_fmac_f64_e32 v[42:43], s[6:7], v[144:145]
	v_add_f64 v[144:145], v[38:39], v[10:11]
	v_add_f64 v[40:41], v[40:41], v[28:29]
	v_fmac_f64_e32 v[84:85], -0.5, v[144:145]
	v_add_f64 v[40:41], v[40:41], v[18:19]
	v_fma_f64 v[144:145], s[10:11], v[142:143], v[84:85]
	v_add_f64 v[146:147], v[28:29], -v[38:39]
	v_add_f64 v[148:149], v[18:19], -v[10:11]
	v_fmac_f64_e32 v[84:85], s[0:1], v[142:143]
	v_add_f64 v[142:143], v[22:23], v[14:15]
	v_add_f64 v[40:41], v[40:41], v[10:11]
	v_fmac_f64_e32 v[144:145], s[2:3], v[114:115]
	v_add_f64 v[146:147], v[146:147], v[148:149]
	v_fmac_f64_e32 v[84:85], s[12:13], v[114:115]
	v_fma_f64 v[142:143], -0.5, v[142:143], v[12:13]
	v_add_f64 v[10:11], v[38:39], -v[10:11]
	v_fmac_f64_e32 v[144:145], s[6:7], v[146:147]
	v_fmac_f64_e32 v[84:85], s[6:7], v[146:147]
	v_fma_f64 v[38:39], s[10:11], v[10:11], v[142:143]
	v_add_f64 v[18:19], v[28:29], -v[18:19]
	v_add_f64 v[28:29], v[36:37], -v[22:23]
	;; [unrolled: 1-line block ×3, first 2 shown]
	v_fmac_f64_e32 v[142:143], s[0:1], v[10:11]
	v_fmac_f64_e32 v[38:39], s[12:13], v[18:19]
	v_add_f64 v[28:29], v[28:29], v[146:147]
	v_fmac_f64_e32 v[142:143], s[2:3], v[18:19]
	v_fmac_f64_e32 v[38:39], s[6:7], v[28:29]
	;; [unrolled: 1-line block ×3, first 2 shown]
	v_add_f64 v[28:29], v[36:37], v[8:9]
	v_add_f64 v[114:115], v[12:13], v[36:37]
	v_fmac_f64_e32 v[12:13], -0.5, v[28:29]
	v_add_f64 v[114:115], v[114:115], v[22:23]
	v_fma_f64 v[28:29], s[0:1], v[18:19], v[12:13]
	v_fmac_f64_e32 v[12:13], s[10:11], v[18:19]
	v_add_f64 v[114:115], v[114:115], v[14:15]
	v_fmac_f64_e32 v[28:29], s[12:13], v[10:11]
	v_fmac_f64_e32 v[12:13], s[2:3], v[10:11]
	v_add_f64 v[10:11], v[20:21], v[6:7]
	v_add_f64 v[114:115], v[114:115], v[8:9]
	v_add_f64 v[22:23], v[22:23], -v[36:37]
	v_add_f64 v[8:9], v[14:15], -v[8:9]
	v_fma_f64 v[10:11], -0.5, v[10:11], v[32:33]
	v_add_f64 v[14:15], v[24:25], -v[2:3]
	v_add_f64 v[8:9], v[22:23], v[8:9]
	v_fma_f64 v[18:19], s[0:1], v[14:15], v[10:11]
	v_add_f64 v[22:23], v[16:17], -v[0:1]
	v_add_f64 v[36:37], v[26:27], -v[20:21]
	;; [unrolled: 1-line block ×3, first 2 shown]
	v_fmac_f64_e32 v[10:11], s[10:11], v[14:15]
	v_fmac_f64_e32 v[18:19], s[2:3], v[22:23]
	v_add_f64 v[36:37], v[36:37], v[146:147]
	v_fmac_f64_e32 v[10:11], s[12:13], v[22:23]
	v_fmac_f64_e32 v[28:29], s[6:7], v[8:9]
	;; [unrolled: 1-line block ×3, first 2 shown]
	v_add_f64 v[8:9], v[32:33], v[26:27]
	v_fmac_f64_e32 v[18:19], s[6:7], v[36:37]
	v_fmac_f64_e32 v[10:11], s[6:7], v[36:37]
	v_add_f64 v[36:37], v[26:27], v[4:5]
	v_add_f64 v[8:9], v[8:9], v[20:21]
	v_fmac_f64_e32 v[32:33], -0.5, v[36:37]
	v_add_f64 v[8:9], v[8:9], v[6:7]
	v_fma_f64 v[36:37], s[10:11], v[22:23], v[32:33]
	v_add_f64 v[146:147], v[20:21], -v[26:27]
	v_add_f64 v[148:149], v[6:7], -v[4:5]
	v_fmac_f64_e32 v[32:33], s[0:1], v[22:23]
	v_add_f64 v[22:23], v[16:17], v[0:1]
	v_add_f64 v[8:9], v[8:9], v[4:5]
	v_fmac_f64_e32 v[36:37], s[2:3], v[14:15]
	v_add_f64 v[146:147], v[146:147], v[148:149]
	v_fmac_f64_e32 v[32:33], s[12:13], v[14:15]
	v_fma_f64 v[22:23], -0.5, v[22:23], v[34:35]
	v_add_f64 v[4:5], v[26:27], -v[4:5]
	v_fmac_f64_e32 v[36:37], s[6:7], v[146:147]
	v_fmac_f64_e32 v[32:33], s[6:7], v[146:147]
	v_fma_f64 v[26:27], s[10:11], v[4:5], v[22:23]
	v_add_f64 v[6:7], v[20:21], -v[6:7]
	v_add_f64 v[20:21], v[24:25], -v[16:17]
	;; [unrolled: 1-line block ×3, first 2 shown]
	v_fmac_f64_e32 v[22:23], s[0:1], v[4:5]
	v_fmac_f64_e32 v[26:27], s[12:13], v[6:7]
	v_add_f64 v[20:21], v[20:21], v[146:147]
	v_fmac_f64_e32 v[22:23], s[2:3], v[6:7]
	v_add_f64 v[14:15], v[34:35], v[24:25]
	v_fmac_f64_e32 v[26:27], s[6:7], v[20:21]
	v_fmac_f64_e32 v[22:23], s[6:7], v[20:21]
	v_add_f64 v[20:21], v[24:25], v[2:3]
	v_add_f64 v[14:15], v[14:15], v[16:17]
	v_fmac_f64_e32 v[34:35], -0.5, v[20:21]
	v_add_f64 v[14:15], v[14:15], v[0:1]
	v_fma_f64 v[20:21], s[0:1], v[6:7], v[34:35]
	v_add_f64 v[16:17], v[16:17], -v[24:25]
	v_add_f64 v[0:1], v[0:1], -v[2:3]
	v_fmac_f64_e32 v[34:35], s[10:11], v[6:7]
	v_add_f64 v[0:1], v[16:17], v[0:1]
	v_fmac_f64_e32 v[34:35], s[2:3], v[4:5]
	v_fmac_f64_e32 v[20:21], s[12:13], v[4:5]
	;; [unrolled: 1-line block ×3, first 2 shown]
	v_add_f64 v[14:15], v[14:15], v[2:3]
	v_fmac_f64_e32 v[20:21], s[6:7], v[0:1]
	v_mul_f64 v[2:3], v[26:27], s[2:3]
	v_mul_f64 v[24:25], v[34:35], s[0:1]
	v_mul_f64 v[26:27], v[26:27], s[14:15]
	v_fmac_f64_e32 v[2:3], s[14:15], v[18:19]
	v_mul_f64 v[6:7], v[20:21], s[0:1]
	v_fmac_f64_e32 v[24:25], s[16:17], v[32:33]
	v_mul_f64 v[148:149], v[22:23], s[2:3]
	;; [unrolled: 2-line block ×3, first 2 shown]
	v_mul_f64 v[20:21], v[34:35], s[16:17]
	v_mul_f64 v[22:23], v[22:23], s[18:19]
	v_add_f64 v[146:147], v[84:85], v[24:25]
	v_fmac_f64_e32 v[148:149], s[18:19], v[10:11]
	v_add_f64 v[152:153], v[114:115], v[14:15]
	v_fmac_f64_e32 v[20:21], s[10:11], v[32:33]
	v_fmac_f64_e32 v[22:23], s[12:13], v[10:11]
	v_add_f64 v[10:11], v[84:85], -v[24:25]
	v_add_f64 v[84:85], v[114:115], -v[14:15]
	v_mov_b32_e32 v114, 3
	v_add_f64 v[164:165], v[12:13], v[20:21]
	v_add_f64 v[168:169], v[12:13], -v[20:21]
	v_mul_u32_u24_e32 v12, 0x320, v134
	v_lshlrev_b32_sdwa v13, v114, v135 dst_sel:DWORD dst_unused:UNUSED_PAD src0_sel:DWORD src1_sel:BYTE_0
	v_add3_u32 v115, 0, v12, v13
	v_mul_u32_u24_e32 v12, 0x320, v136
	v_lshlrev_b32_sdwa v13, v114, v137 dst_sel:DWORD dst_unused:UNUSED_PAD src0_sel:DWORD src1_sel:BYTE_0
	v_fmac_f64_e32 v[6:7], s[6:7], v[36:37]
	ds_write2_b64 v115, v[78:79], v[90:91] offset1:10
	ds_write2_b64 v115, v[92:93], v[94:95] offset0:20 offset1:30
	ds_write2_b64 v115, v[96:97], v[102:103] offset0:40 offset1:50
	;; [unrolled: 1-line block ×4, first 2 shown]
	v_add3_u32 v78, 0, v12, v13
	v_mul_u32_u24_e32 v12, 0x320, v138
	v_lshlrev_b32_e32 v13, 3, v139
	v_add_f64 v[0:1], v[40:41], v[8:9]
	v_add_f64 v[4:5], v[116:117], v[2:3]
	;; [unrolled: 1-line block ×3, first 2 shown]
	v_fmac_f64_e32 v[18:19], s[10:11], v[36:37]
	v_add_f64 v[8:9], v[40:41], -v[8:9]
	v_add_f64 v[2:3], v[116:117], -v[2:3]
	;; [unrolled: 1-line block ×4, first 2 shown]
	ds_write2_b64 v78, v[30:31], v[118:119] offset1:10
	ds_write2_b64 v78, v[154:155], v[158:159] offset0:20 offset1:30
	ds_write2_b64 v78, v[162:163], v[44:45] offset0:40 offset1:50
	;; [unrolled: 1-line block ×4, first 2 shown]
	v_add3_u32 v79, 0, v12, v13
	v_add_u32_e32 v118, 0x1000, v122
	v_add_u32_e32 v116, 0x2000, v122
	;; [unrolled: 1-line block ×11, first 2 shown]
	v_lshl_add_u32 v139, v130, 3, 0
	s_movk_i32 s0, 0x64
	v_add_f64 v[150:151], v[42:43], v[148:149]
	v_add_f64 v[156:157], v[38:39], v[26:27]
	;; [unrolled: 1-line block ×4, first 2 shown]
	v_add_f64 v[144:145], v[38:39], -v[26:27]
	v_add_f64 v[148:149], v[28:29], -v[18:19]
	;; [unrolled: 1-line block ×3, first 2 shown]
	ds_write2_b64 v79, v[0:1], v[4:5] offset1:10
	ds_write2_b64 v79, v[16:17], v[146:147] offset0:20 offset1:30
	ds_write2_b64 v79, v[150:151], v[8:9] offset0:40 offset1:50
	;; [unrolled: 1-line block ×4, first 2 shown]
	s_waitcnt lgkmcnt(0)
	s_barrier
	ds_read_b64 v[96:97], v122
	ds_read2_b64 v[44:47], v118 offset0:88 offset1:208
	ds_read2_b64 v[8:11], v116 offset0:56 offset1:176
	;; [unrolled: 1-line block ×7, first 2 shown]
	ds_read_b64 v[94:95], v132
	ds_read_b64 v[92:93], v133
	ds_read2_b64 v[24:27], v136 offset0:72 offset1:192
	ds_read2_b64 v[20:23], v137 offset0:120 offset1:240
	;; [unrolled: 1-line block ×5, first 2 shown]
	ds_read_b64 v[88:89], v139
	ds_read_b64 v[90:91], v123
	ds_read_b64 v[98:99], v122 offset:27840
	s_waitcnt lgkmcnt(0)
	s_barrier
	ds_write2_b64 v115, v[52:53], v[54:55] offset1:10
	ds_write2_b64 v115, v[58:59], v[60:61] offset0:20 offset1:30
	ds_write2_b64 v115, v[62:63], v[64:65] offset0:40 offset1:50
	ds_write2_b64 v115, v[66:67], v[68:69] offset0:60 offset1:70
	ds_write2_b64 v115, v[70:71], v[72:73] offset0:80 offset1:90
	ds_write2_b64 v78, v[48:49], v[50:51] offset1:10
	ds_write2_b64 v78, v[56:57], v[74:75] offset0:20 offset1:30
	ds_write2_b64 v78, v[80:81], v[82:83] offset0:40 offset1:50
	ds_write2_b64 v78, v[86:87], v[100:101] offset0:60 offset1:70
	ds_write2_b64 v78, v[76:77], v[106:107] offset0:80 offset1:90
	;; [unrolled: 5-line block ×3, first 2 shown]
	v_add_u32_e32 v48, 0xffffff9c, v128
	v_cmp_gt_u32_e64 s[0:1], s0, v128
	v_mov_b32_e32 v107, 0
	s_waitcnt lgkmcnt(0)
	v_cndmask_b32_e64 v115, v48, v128, s[0:1]
	v_mul_i32_i24_e32 v106, 5, v115
	v_lshl_add_u64 v[100:101], v[106:107], 4, s[4:5]
	s_barrier
	global_load_dwordx4 v[84:87], v[100:101], off offset:1440
	v_mov_b32_e32 v48, 41
	v_mul_lo_u16_sdwa v48, v129, v48 dst_sel:DWORD dst_unused:UNUSED_PAD src0_sel:BYTE_0 src1_sel:DWORD
	v_lshrrev_b16_e32 v106, 12, v48
	v_mul_lo_u16_e32 v48, 0x64, v106
	v_sub_u16_e32 v142, v129, v48
	v_mov_b32_e32 v48, 5
	v_mul_u32_u24_sdwa v48, v142, v48 dst_sel:DWORD dst_unused:UNUSED_PAD src0_sel:BYTE_0 src1_sel:DWORD
	v_lshlrev_b32_e32 v72, 4, v48
	global_load_dwordx4 v[108:111], v72, s[4:5] offset:1440
	global_load_dwordx4 v[56:59], v[100:101], off offset:1472
	global_load_dwordx4 v[52:55], v[100:101], off offset:1504
	global_load_dwordx4 v[48:51], v72, s[4:5] offset:1472
	global_load_dwordx4 v[68:71], v72, s[4:5] offset:1504
	;; [unrolled: 1-line block ×4, first 2 shown]
	v_lshrrev_b16_e32 v72, 2, v127
	v_mul_u32_u24_e32 v72, 0x147b, v72
	v_lshrrev_b32_e32 v144, 17, v72
	v_mul_lo_u16_e32 v72, 0x64, v144
	v_sub_u16_e32 v143, v127, v72
	v_mul_u32_u24_e32 v72, 5, v143
	v_lshlrev_b32_e32 v104, 4, v72
	global_load_dwordx4 v[80:83], v104, s[4:5] offset:1456
	global_load_dwordx4 v[72:75], v104, s[4:5] offset:1488
	global_load_dwordx4 v[76:79], v104, s[4:5] offset:1440
	v_lshrrev_b16_e32 v102, 2, v126
	v_mul_u32_u24_e32 v102, 0x147b, v102
	v_lshrrev_b32_e32 v146, 17, v102
	v_mul_lo_u16_e32 v102, 0x64, v146
	v_sub_u16_e32 v145, v126, v102
	v_mul_u32_u24_e32 v102, 5, v145
	v_lshlrev_b32_e32 v105, 4, v102
	global_load_dwordx4 v[150:153], v105, s[4:5] offset:1440
	global_load_dwordx4 v[154:157], v104, s[4:5] offset:1472
	ds_read2_b64 v[158:161], v118 offset0:88 offset1:208
	ds_read2_b64 v[166:169], v120 offset0:8 offset1:128
	global_load_dwordx4 v[162:165], v[100:101], off offset:1456
	s_mov_b32 s2, 0xe8584caa
	s_mov_b32 s3, 0xbfebb67a
	;; [unrolled: 1-line block ×4, first 2 shown]
	s_movk_i32 s0, 0x63
	v_cmp_lt_u32_e64 s[0:1], s0, v128
	s_movk_i32 s11, 0x12c0
	s_movk_i32 s10, 0x2000
	s_waitcnt vmcnt(13) lgkmcnt(1)
	v_mul_f64 v[102:103], v[158:159], v[86:87]
	v_fmac_f64_e32 v[102:103], v[44:45], v[84:85]
	v_mul_f64 v[44:45], v[44:45], v[86:87]
	v_fma_f64 v[84:85], v[158:159], v[84:85], -v[44:45]
	s_waitcnt vmcnt(12)
	v_mul_f64 v[44:45], v[160:161], v[110:111]
	v_fmac_f64_e32 v[44:45], v[46:47], v[108:109]
	v_mul_f64 v[46:47], v[46:47], v[110:111]
	v_fma_f64 v[46:47], v[160:161], v[108:109], -v[46:47]
	global_load_dwordx4 v[158:161], v[100:101], off offset:1488
	ds_read2_b64 v[108:111], v119 offset0:56 offset1:176
	s_waitcnt vmcnt(12) lgkmcnt(1)
	v_mul_f64 v[170:171], v[166:167], v[58:59]
	v_fmac_f64_e32 v[170:171], v[40:41], v[56:57]
	v_mul_f64 v[40:41], v[40:41], v[58:59]
	v_fma_f64 v[172:173], v[166:167], v[56:57], -v[40:41]
	s_waitcnt vmcnt(11) lgkmcnt(0)
	v_mul_f64 v[174:175], v[108:109], v[54:55]
	v_fmac_f64_e32 v[174:175], v[36:37], v[52:53]
	v_mul_f64 v[36:37], v[36:37], v[54:55]
	v_fma_f64 v[52:53], v[108:109], v[52:53], -v[36:37]
	s_waitcnt vmcnt(10)
	v_mul_f64 v[36:37], v[42:43], v[50:51]
	v_mul_f64 v[86:87], v[168:169], v[50:51]
	v_fma_f64 v[108:109], v[168:169], v[48:49], -v[36:37]
	global_load_dwordx4 v[166:169], v105, s[4:5] offset:1472
	s_waitcnt vmcnt(10)
	v_mul_f64 v[100:101], v[110:111], v[70:71]
	v_mul_f64 v[36:37], v[38:39], v[70:71]
	v_fmac_f64_e32 v[86:87], v[42:43], v[48:49]
	ds_read2_b64 v[48:51], v134 offset0:40 offset1:160
	v_fmac_f64_e32 v[100:101], v[38:39], v[68:69]
	v_fma_f64 v[110:111], v[110:111], v[68:69], -v[36:37]
	ds_read2_b64 v[36:39], v135 offset0:88 offset1:208
	global_load_dwordx4 v[56:59], v104, s[4:5] offset:1504
	s_waitcnt vmcnt(9) lgkmcnt(1)
	v_mul_f64 v[176:177], v[48:49], v[66:67]
	v_fmac_f64_e32 v[176:177], v[32:33], v[64:65]
	v_mul_f64 v[32:33], v[32:33], v[66:67]
	s_waitcnt lgkmcnt(0)
	v_mul_f64 v[180:181], v[36:37], v[62:63]
	v_fmac_f64_e32 v[180:181], v[28:29], v[60:61]
	v_mul_f64 v[28:29], v[28:29], v[62:63]
	s_waitcnt vmcnt(8)
	v_mul_f64 v[42:43], v[50:51], v[82:83]
	v_fma_f64 v[178:179], v[48:49], v[64:65], -v[32:33]
	v_fma_f64 v[182:183], v[36:37], v[60:61], -v[28:29]
	v_fmac_f64_e32 v[42:43], v[34:35], v[80:81]
	v_mul_f64 v[28:29], v[34:35], v[82:83]
	global_load_dwordx4 v[32:35], v105, s[4:5] offset:1504
	v_fma_f64 v[50:51], v[50:51], v[80:81], -v[28:29]
	v_lshrrev_b16_e32 v28, 2, v130
	v_mul_u32_u24_e32 v28, 0x147b, v28
	v_lshrrev_b32_e32 v147, 17, v28
	v_mul_lo_u16_e32 v28, 0x64, v147
	v_sub_u16_e32 v148, v130, v28
	v_mul_u32_u24_e32 v28, 5, v148
	v_lshlrev_b32_e32 v149, 4, v28
	global_load_dwordx4 v[60:63], v149, s[4:5] offset:1440
	s_waitcnt vmcnt(9)
	v_mul_f64 v[48:49], v[38:39], v[74:75]
	v_mul_f64 v[36:37], v[30:31], v[74:75]
	v_fmac_f64_e32 v[48:49], v[30:31], v[72:73]
	v_fma_f64 v[68:69], v[38:39], v[72:73], -v[36:37]
	global_load_dwordx4 v[72:75], v105, s[4:5] offset:1456
	ds_read2_b64 v[28:31], v136 offset0:72 offset1:192
	s_waitcnt vmcnt(9) lgkmcnt(0)
	v_mul_f64 v[36:37], v[28:29], v[78:79]
	v_fmac_f64_e32 v[36:37], v[24:25], v[76:77]
	v_mul_f64 v[24:25], v[24:25], v[78:79]
	v_fma_f64 v[38:39], v[28:29], v[76:77], -v[24:25]
	global_load_dwordx4 v[76:79], v149, s[4:5] offset:1456
	s_waitcnt vmcnt(9)
	v_mul_f64 v[24:25], v[30:31], v[152:153]
	v_fmac_f64_e32 v[24:25], v[26:27], v[150:151]
	v_mul_f64 v[26:27], v[26:27], v[152:153]
	v_fma_f64 v[26:27], v[30:31], v[150:151], -v[26:27]
	ds_read2_b64 v[28:31], v137 offset0:120 offset1:240
	global_load_dwordx4 v[150:153], v149, s[4:5] offset:1504
	s_waitcnt vmcnt(9) lgkmcnt(0)
	v_mul_f64 v[54:55], v[28:29], v[156:157]
	v_fmac_f64_e32 v[54:55], v[20:21], v[154:155]
	v_mul_f64 v[20:21], v[20:21], v[156:157]
	v_fma_f64 v[66:67], v[28:29], v[154:155], -v[20:21]
	ds_read_b64 v[154:155], v122
	s_waitcnt vmcnt(6)
	v_mul_f64 v[20:21], v[30:31], v[168:169]
	v_fmac_f64_e32 v[20:21], v[22:23], v[166:167]
	v_mul_f64 v[22:23], v[22:23], v[168:169]
	v_fma_f64 v[22:23], v[30:31], v[166:167], -v[22:23]
	ds_read2_b64 v[28:31], v138 offset0:40 offset1:160
	s_waitcnt vmcnt(5) lgkmcnt(0)
	v_mul_f64 v[70:71], v[28:29], v[58:59]
	v_fmac_f64_e32 v[70:71], v[16:17], v[56:57]
	v_mul_f64 v[16:17], v[16:17], v[58:59]
	v_fma_f64 v[80:81], v[28:29], v[56:57], -v[16:17]
	global_load_dwordx4 v[56:59], v105, s[4:5] offset:1488
	s_waitcnt vmcnt(5)
	v_mul_f64 v[40:41], v[30:31], v[34:35]
	v_mul_f64 v[16:17], v[18:19], v[34:35]
	v_fmac_f64_e32 v[40:41], v[18:19], v[32:33]
	v_fma_f64 v[18:19], v[30:31], v[32:33], -v[16:17]
	ds_read2_b64 v[28:31], v116 offset0:56 offset1:176
	s_waitcnt lgkmcnt(0)
	v_mul_f64 v[64:65], v[30:31], v[164:165]
	v_fmac_f64_e32 v[64:65], v[10:11], v[162:163]
	v_mul_f64 v[10:11], v[10:11], v[164:165]
	v_fma_f64 v[82:83], v[30:31], v[162:163], -v[10:11]
	global_load_dwordx4 v[30:33], v149, s[4:5] offset:1472
	s_waitcnt vmcnt(5)
	v_mul_f64 v[10:11], v[28:29], v[62:63]
	v_fmac_f64_e32 v[10:11], v[8:9], v[60:61]
	v_mul_f64 v[8:9], v[8:9], v[62:63]
	v_fma_f64 v[8:9], v[28:29], v[60:61], -v[8:9]
	ds_read2_b64 v[60:63], v140 offset0:24 offset1:144
	s_waitcnt vmcnt(4) lgkmcnt(0)
	v_mul_f64 v[104:105], v[60:61], v[74:75]
	v_fmac_f64_e32 v[104:105], v[12:13], v[72:73]
	v_mul_f64 v[12:13], v[12:13], v[74:75]
	v_fma_f64 v[112:113], v[60:61], v[72:73], -v[12:13]
	global_load_dwordx4 v[72:75], v149, s[4:5] offset:1488
	s_waitcnt vmcnt(4)
	v_mul_f64 v[12:13], v[62:63], v[78:79]
	v_fmac_f64_e32 v[12:13], v[14:15], v[76:77]
	v_mul_f64 v[14:15], v[14:15], v[78:79]
	v_fma_f64 v[16:17], v[62:63], v[76:77], -v[14:15]
	ds_read2_b64 v[60:63], v117 offset0:104 offset1:224
	s_waitcnt lgkmcnt(0)
	v_mul_f64 v[28:29], v[62:63], v[160:161]
	v_fmac_f64_e32 v[28:29], v[2:3], v[158:159]
	v_mul_f64 v[2:3], v[2:3], v[160:161]
	v_fma_f64 v[78:79], v[62:63], v[158:159], -v[2:3]
	s_waitcnt vmcnt(1)
	v_mul_f64 v[2:3], v[60:61], v[32:33]
	v_fmac_f64_e32 v[2:3], v[0:1], v[30:31]
	v_mul_f64 v[0:1], v[0:1], v[32:33]
	ds_read2_b64 v[32:35], v141 offset0:72 offset1:192
	v_fma_f64 v[14:15], v[60:61], v[30:31], -v[0:1]
	v_mul_f64 v[0:1], v[4:5], v[58:59]
	s_waitcnt lgkmcnt(0)
	v_fma_f64 v[158:159], v[32:33], v[56:57], -v[0:1]
	ds_read_b64 v[0:1], v139
	ds_read_b64 v[76:77], v123
	ds_read_b64 v[30:31], v122 offset:27840
	v_mul_f64 v[156:157], v[32:33], v[58:59]
	v_fmac_f64_e32 v[156:157], v[4:5], v[56:57]
	v_mul_f64 v[32:33], v[98:99], v[152:153]
	ds_read_b64 v[160:161], v132
	ds_read_b64 v[162:163], v133
	s_waitcnt vmcnt(0)
	v_mul_f64 v[4:5], v[34:35], v[74:75]
	v_fmac_f64_e32 v[4:5], v[6:7], v[72:73]
	v_mul_f64 v[6:7], v[6:7], v[74:75]
	s_waitcnt lgkmcnt(2)
	v_fma_f64 v[60:61], v[30:31], v[150:151], -v[32:33]
	v_add_f64 v[32:33], v[64:65], v[28:29]
	v_fma_f64 v[62:63], v[34:35], v[72:73], -v[6:7]
	v_mul_f64 v[6:7], v[30:31], v[152:153]
	v_add_f64 v[30:31], v[96:97], v[64:65]
	v_fmac_f64_e32 v[96:97], -0.5, v[32:33]
	v_add_f64 v[32:33], v[82:83], -v[78:79]
	v_fma_f64 v[34:35], s[2:3], v[32:33], v[96:97]
	v_fmac_f64_e32 v[96:97], s[6:7], v[32:33]
	v_add_f64 v[32:33], v[154:155], v[82:83]
	v_add_f64 v[56:57], v[32:33], v[78:79]
	;; [unrolled: 1-line block ×4, first 2 shown]
	v_fmac_f64_e32 v[154:155], -0.5, v[32:33]
	v_add_f64 v[28:29], v[64:65], -v[28:29]
	v_fma_f64 v[58:59], s[6:7], v[28:29], v[154:155]
	v_fmac_f64_e32 v[154:155], s[2:3], v[28:29]
	v_add_f64 v[28:29], v[102:103], v[170:171]
	v_add_f64 v[32:33], v[28:29], v[174:175]
	;; [unrolled: 1-line block ×3, first 2 shown]
	v_fmac_f64_e32 v[102:103], -0.5, v[28:29]
	v_add_f64 v[28:29], v[172:173], -v[52:53]
	v_fma_f64 v[72:73], s[2:3], v[28:29], v[102:103]
	v_fmac_f64_e32 v[102:103], s[6:7], v[28:29]
	v_add_f64 v[28:29], v[84:85], v[172:173]
	v_add_f64 v[74:75], v[28:29], v[52:53]
	;; [unrolled: 1-line block ×3, first 2 shown]
	v_fmac_f64_e32 v[84:85], -0.5, v[28:29]
	v_add_f64 v[28:29], v[170:171], -v[174:175]
	v_fma_f64 v[78:79], s[6:7], v[28:29], v[84:85]
	v_mul_f64 v[82:83], v[78:79], s[2:3]
	v_fmac_f64_e32 v[82:83], 0.5, v[72:73]
	v_mul_f64 v[78:79], v[78:79], 0.5
	v_fmac_f64_e32 v[6:7], v[98:99], v[150:151]
	v_fmac_f64_e32 v[84:85], s[2:3], v[28:29]
	v_add_f64 v[64:65], v[34:35], v[82:83]
	v_fmac_f64_e32 v[78:79], s[6:7], v[72:73]
	v_add_f64 v[28:29], v[56:57], v[74:75]
	v_add_f64 v[98:99], v[34:35], -v[82:83]
	v_add_f64 v[34:35], v[56:57], -v[74:75]
	v_add_f64 v[74:75], v[94:95], v[176:177]
	v_add_f64 v[52:53], v[30:31], v[32:33]
	v_mul_f64 v[150:151], v[84:85], s[2:3]
	v_mul_f64 v[152:153], v[84:85], -0.5
	v_add_f64 v[84:85], v[30:31], -v[32:33]
	v_add_f64 v[30:31], v[58:59], v[78:79]
	v_add_f64 v[56:57], v[58:59], -v[78:79]
	v_add_f64 v[78:79], v[74:75], v[180:181]
	v_add_f64 v[74:75], v[176:177], v[180:181]
	v_fmac_f64_e32 v[94:95], -0.5, v[74:75]
	v_add_f64 v[74:75], v[178:179], -v[182:183]
	v_fmac_f64_e32 v[150:151], -0.5, v[102:103]
	v_fma_f64 v[82:83], s[2:3], v[74:75], v[94:95]
	v_fmac_f64_e32 v[94:95], s[6:7], v[74:75]
	s_waitcnt lgkmcnt(1)
	v_add_f64 v[74:75], v[160:161], v[178:179]
	v_add_f64 v[72:73], v[96:97], v[150:151]
	v_fmac_f64_e32 v[152:153], s[6:7], v[102:103]
	v_add_f64 v[102:103], v[96:97], -v[150:151]
	v_add_f64 v[96:97], v[74:75], v[182:183]
	v_add_f64 v[74:75], v[178:179], v[182:183]
	v_fmac_f64_e32 v[160:161], -0.5, v[74:75]
	v_add_f64 v[74:75], v[176:177], -v[180:181]
	v_fma_f64 v[150:151], s[6:7], v[74:75], v[160:161]
	v_fmac_f64_e32 v[160:161], s[2:3], v[74:75]
	v_add_f64 v[74:75], v[44:45], v[86:87]
	v_add_f64 v[32:33], v[154:155], v[152:153]
	v_add_f64 v[58:59], v[154:155], -v[152:153]
	v_add_f64 v[152:153], v[74:75], v[100:101]
	v_add_f64 v[74:75], v[86:87], v[100:101]
	v_fmac_f64_e32 v[44:45], -0.5, v[74:75]
	v_add_f64 v[74:75], v[108:109], -v[110:111]
	v_fma_f64 v[154:155], s[2:3], v[74:75], v[44:45]
	v_fmac_f64_e32 v[44:45], s[6:7], v[74:75]
	v_add_f64 v[74:75], v[46:47], v[108:109]
	v_add_f64 v[164:165], v[74:75], v[110:111]
	;; [unrolled: 1-line block ×3, first 2 shown]
	v_fmac_f64_e32 v[46:47], -0.5, v[74:75]
	v_add_f64 v[74:75], v[86:87], -v[100:101]
	v_fma_f64 v[86:87], s[6:7], v[74:75], v[46:47]
	v_fmac_f64_e32 v[46:47], s[2:3], v[74:75]
	v_mul_f64 v[100:101], v[86:87], s[2:3]
	v_mul_f64 v[86:87], v[86:87], 0.5
	v_fmac_f64_e32 v[100:101], 0.5, v[154:155]
	v_mul_f64 v[110:111], v[46:47], s[2:3]
	v_fmac_f64_e32 v[86:87], s[6:7], v[154:155]
	v_mul_f64 v[46:47], v[46:47], -0.5
	v_add_f64 v[108:109], v[78:79], v[152:153]
	v_add_f64 v[166:167], v[82:83], v[100:101]
	v_fmac_f64_e32 v[110:111], -0.5, v[44:45]
	v_fmac_f64_e32 v[46:47], s[6:7], v[44:45]
	v_add_f64 v[44:45], v[78:79], -v[152:153]
	v_add_f64 v[78:79], v[150:151], v[86:87]
	v_add_f64 v[152:153], v[82:83], -v[100:101]
	v_add_f64 v[100:101], v[150:151], -v[86:87]
	v_add_f64 v[86:87], v[42:43], v[48:49]
	v_add_f64 v[154:155], v[94:95], v[110:111]
	;; [unrolled: 1-line block ×3, first 2 shown]
	v_add_f64 v[94:95], v[94:95], -v[110:111]
	v_add_f64 v[110:111], v[160:161], -v[46:47]
	v_add_f64 v[46:47], v[92:93], v[42:43]
	v_fmac_f64_e32 v[92:93], -0.5, v[86:87]
	v_add_f64 v[86:87], v[50:51], -v[68:69]
	v_fma_f64 v[150:151], s[2:3], v[86:87], v[92:93]
	v_fmac_f64_e32 v[92:93], s[6:7], v[86:87]
	s_waitcnt lgkmcnt(0)
	v_add_f64 v[86:87], v[162:163], v[50:51]
	v_add_f64 v[50:51], v[50:51], v[68:69]
	v_fmac_f64_e32 v[162:163], -0.5, v[50:51]
	v_add_f64 v[42:43], v[42:43], -v[48:49]
	v_add_f64 v[50:51], v[54:55], v[70:71]
	v_add_f64 v[46:47], v[46:47], v[48:49]
	v_fma_f64 v[48:49], s[6:7], v[42:43], v[162:163]
	v_fmac_f64_e32 v[162:163], s[2:3], v[42:43]
	v_add_f64 v[42:43], v[36:37], v[54:55]
	v_fmac_f64_e32 v[36:37], -0.5, v[50:51]
	v_add_f64 v[50:51], v[66:67], -v[80:81]
	v_add_f64 v[86:87], v[86:87], v[68:69]
	v_fma_f64 v[68:69], s[2:3], v[50:51], v[36:37]
	v_fmac_f64_e32 v[36:37], s[6:7], v[50:51]
	v_add_f64 v[50:51], v[38:39], v[66:67]
	v_add_f64 v[66:67], v[66:67], v[80:81]
	v_fmac_f64_e32 v[38:39], -0.5, v[66:67]
	v_add_f64 v[54:55], v[54:55], -v[70:71]
	v_fma_f64 v[66:67], s[6:7], v[54:55], v[38:39]
	v_add_f64 v[42:43], v[42:43], v[70:71]
	v_fmac_f64_e32 v[38:39], s[2:3], v[54:55]
	v_mul_f64 v[70:71], v[66:67], s[2:3]
	v_mul_f64 v[66:67], v[66:67], 0.5
	v_mul_f64 v[160:161], v[38:39], s[2:3]
	v_fmac_f64_e32 v[66:67], s[6:7], v[68:69]
	v_mul_f64 v[38:39], v[38:39], -0.5
	v_add_f64 v[50:51], v[50:51], v[80:81]
	v_fmac_f64_e32 v[70:71], 0.5, v[68:69]
	v_fmac_f64_e32 v[160:161], -0.5, v[36:37]
	v_fmac_f64_e32 v[38:39], s[6:7], v[36:37]
	v_add_f64 v[168:169], v[48:49], v[66:67]
	v_add_f64 v[66:67], v[48:49], -v[66:67]
	v_add_f64 v[48:49], v[104:105], v[156:157]
	v_add_f64 v[74:75], v[96:97], v[164:165]
	v_add_f64 v[96:97], v[96:97], -v[164:165]
	v_add_f64 v[54:55], v[46:47], v[42:43]
	v_add_f64 v[80:81], v[150:151], v[70:71]
	;; [unrolled: 1-line block ×4, first 2 shown]
	v_add_f64 v[36:37], v[46:47], -v[42:43]
	v_add_f64 v[42:43], v[150:151], -v[70:71]
	v_add_f64 v[70:71], v[162:163], v[38:39]
	v_add_f64 v[46:47], v[92:93], -v[160:161]
	v_add_f64 v[92:93], v[86:87], -v[50:51]
	;; [unrolled: 1-line block ×3, first 2 shown]
	v_add_f64 v[38:39], v[90:91], v[104:105]
	v_fmac_f64_e32 v[90:91], -0.5, v[48:49]
	v_add_f64 v[48:49], v[112:113], -v[158:159]
	v_add_f64 v[86:87], v[112:113], v[158:159]
	v_fma_f64 v[50:51], s[2:3], v[48:49], v[90:91]
	v_fmac_f64_e32 v[90:91], s[6:7], v[48:49]
	v_add_f64 v[48:49], v[76:77], v[112:113]
	v_fmac_f64_e32 v[76:77], -0.5, v[86:87]
	v_add_f64 v[86:87], v[104:105], -v[156:157]
	v_add_f64 v[112:113], v[20:21], v[40:41]
	v_fma_f64 v[104:105], s[6:7], v[86:87], v[76:77]
	v_fmac_f64_e32 v[76:77], s[2:3], v[86:87]
	;; [unrolled: 6-line block ×3, first 2 shown]
	v_add_f64 v[112:113], v[26:27], v[22:23]
	v_add_f64 v[112:113], v[112:113], v[18:19]
	;; [unrolled: 1-line block ×3, first 2 shown]
	v_fmac_f64_e32 v[26:27], -0.5, v[18:19]
	v_add_f64 v[18:19], v[20:21], -v[40:41]
	v_fma_f64 v[20:21], s[6:7], v[18:19], v[26:27]
	v_fmac_f64_e32 v[26:27], s[2:3], v[18:19]
	v_add_f64 v[48:49], v[48:49], v[158:159]
	v_mul_f64 v[158:159], v[26:27], s[2:3]
	v_mul_f64 v[26:27], v[26:27], -0.5
	v_add_f64 v[86:87], v[86:87], v[40:41]
	v_mul_f64 v[22:23], v[20:21], s[2:3]
	v_fmac_f64_e32 v[158:159], -0.5, v[24:25]
	v_mul_f64 v[20:21], v[20:21], 0.5
	v_fmac_f64_e32 v[26:27], s[6:7], v[24:25]
	v_add_f64 v[18:19], v[38:39], v[86:87]
	v_fmac_f64_e32 v[22:23], 0.5, v[156:157]
	v_fmac_f64_e32 v[20:21], s[6:7], v[156:157]
	v_add_f64 v[156:157], v[90:91], v[158:159]
	v_add_f64 v[160:161], v[48:49], v[112:113]
	v_add_f64 v[24:25], v[38:39], -v[86:87]
	v_add_f64 v[170:171], v[76:77], v[26:27]
	v_add_f64 v[38:39], v[90:91], -v[158:159]
	v_add_f64 v[90:91], v[48:49], -v[112:113]
	;; [unrolled: 1-line block ×3, first 2 shown]
	v_add_f64 v[26:27], v[12:13], v[4:5]
	v_add_f64 v[162:163], v[104:105], v[20:21]
	v_add_f64 v[104:105], v[104:105], -v[20:21]
	v_add_f64 v[20:21], v[88:89], v[12:13]
	v_fmac_f64_e32 v[88:89], -0.5, v[26:27]
	v_add_f64 v[26:27], v[16:17], -v[62:63]
	v_fma_f64 v[48:49], s[2:3], v[26:27], v[88:89]
	v_fmac_f64_e32 v[88:89], s[6:7], v[26:27]
	v_add_f64 v[26:27], v[0:1], v[16:17]
	v_add_f64 v[16:17], v[16:17], v[62:63]
	;; [unrolled: 1-line block ×3, first 2 shown]
	v_fmac_f64_e32 v[0:1], -0.5, v[16:17]
	v_add_f64 v[4:5], v[12:13], -v[4:5]
	v_add_f64 v[16:17], v[2:3], v[6:7]
	v_fma_f64 v[12:13], s[6:7], v[4:5], v[0:1]
	v_fmac_f64_e32 v[0:1], s[2:3], v[4:5]
	v_add_f64 v[4:5], v[10:11], v[2:3]
	v_fmac_f64_e32 v[10:11], -0.5, v[16:17]
	v_add_f64 v[16:17], v[14:15], -v[60:61]
	v_add_f64 v[40:41], v[50:51], v[22:23]
	v_add_f64 v[22:23], v[50:51], -v[22:23]
	v_fma_f64 v[50:51], s[2:3], v[16:17], v[10:11]
	v_fmac_f64_e32 v[10:11], s[6:7], v[16:17]
	v_add_f64 v[16:17], v[8:9], v[14:15]
	v_add_f64 v[14:15], v[14:15], v[60:61]
	v_fmac_f64_e32 v[8:9], -0.5, v[14:15]
	v_add_f64 v[2:3], v[2:3], -v[6:7]
	v_add_f64 v[4:5], v[4:5], v[6:7]
	v_fma_f64 v[6:7], s[6:7], v[2:3], v[8:9]
	v_fmac_f64_e32 v[8:9], s[2:3], v[2:3]
	v_add_f64 v[26:27], v[26:27], v[62:63]
	v_mul_f64 v[62:63], v[8:9], s[2:3]
	v_mul_f64 v[8:9], v[8:9], -0.5
	v_fmac_f64_e32 v[8:9], s[6:7], v[10:11]
	v_add_f64 v[174:175], v[0:1], v[8:9]
	v_add_f64 v[178:179], v[0:1], -v[8:9]
	v_mov_b32_e32 v0, 0x12c0
	v_cndmask_b32_e64 v0, 0, v0, s[0:1]
	v_lshlrev_b32_e32 v1, 3, v115
	v_add3_u32 v149, 0, v0, v1
	s_barrier
	ds_write2_b64 v149, v[52:53], v[64:65] offset1:100
	v_add_u32_e32 v64, 0x400, v149
	v_mul_u32_u24_e32 v0, 0x12c0, v106
	v_lshlrev_b32_sdwa v1, v114, v142 dst_sel:DWORD dst_unused:UNUSED_PAD src0_sel:DWORD src1_sel:BYTE_0
	s_mov_b32 s0, 0x5040100
	v_mul_f64 v[14:15], v[6:7], s[2:3]
	v_mul_f64 v[6:7], v[6:7], 0.5
	ds_write2_b64 v64, v[72:73], v[84:85] offset0:72 offset1:172
	v_add3_u32 v72, 0, v0, v1
	v_perm_b32 v0, v144, v146, s0
	v_fmac_f64_e32 v[6:7], s[6:7], v[50:51]
	v_pk_mul_lo_u16 v0, v0, s11 op_sel_hi:[1,0]
	v_add_f64 v[172:173], v[12:13], v[6:7]
	v_add_f64 v[176:177], v[12:13], -v[6:7]
	v_lshrrev_b32_e32 v1, 16, v0
	v_lshlrev_b32_e32 v6, 3, v143
	v_add_u32_e32 v65, 0x800, v149
	v_add_u32_e32 v73, 0x400, v72
	;; [unrolled: 1-line block ×3, first 2 shown]
	v_add3_u32 v85, 0, v1, v6
	ds_write2_b64 v65, v[98:99], v[102:103] offset0:144 offset1:244
	ds_write2_b64 v72, v[108:109], v[166:167] offset1:100
	ds_write2_b64 v73, v[154:155], v[44:45] offset0:72 offset1:172
	ds_write2_b64 v84, v[152:153], v[94:95] offset0:144 offset1:244
	ds_write2_b64 v85, v[54:55], v[80:81] offset1:100
	v_add_u32_e32 v80, 0x400, v85
	v_and_b32_e32 v0, 0xffc0, v0
	v_lshlrev_b32_e32 v1, 3, v145
	v_fmac_f64_e32 v[14:15], 0.5, v[50:51]
	ds_write2_b64 v80, v[68:69], v[36:37] offset0:72 offset1:172
	v_add3_u32 v69, 0, v0, v1
	v_mul_u32_u24_e32 v0, 0x12c0, v147
	v_lshlrev_b32_e32 v1, 3, v148
	v_add_f64 v[16:17], v[16:17], v[60:61]
	v_add_f64 v[2:3], v[20:21], v[4:5]
	v_add_f64 v[60:61], v[48:49], v[14:15]
	v_fmac_f64_e32 v[62:63], -0.5, v[10:11]
	v_add_u32_e32 v68, 0x800, v85
	v_add_u32_e32 v81, 0x400, v69
	;; [unrolled: 1-line block ×3, first 2 shown]
	v_add3_u32 v99, 0, v0, v1
	v_add_f64 v[50:51], v[88:89], v[62:63]
	v_add_f64 v[4:5], v[20:21], -v[4:5]
	v_add_f64 v[10:11], v[48:49], -v[14:15]
	;; [unrolled: 1-line block ×3, first 2 shown]
	ds_write2_b64 v68, v[42:43], v[46:47] offset0:144 offset1:244
	ds_write2_b64 v69, v[18:19], v[40:41] offset1:100
	ds_write2_b64 v81, v[156:157], v[24:25] offset0:72 offset1:172
	ds_write2_b64 v98, v[22:23], v[38:39] offset0:144 offset1:244
	ds_write2_b64 v99, v[2:3], v[60:61] offset1:100
	v_add_u32_e32 v60, 0x400, v99
	v_add_u32_e32 v61, 0x800, v99
	v_add_f64 v[158:159], v[26:27], v[16:17]
	v_add_f64 v[62:63], v[26:27], -v[16:17]
	ds_write2_b64 v60, v[50:51], v[4:5] offset0:72 offset1:172
	ds_write2_b64 v61, v[10:11], v[14:15] offset0:144 offset1:244
	s_waitcnt lgkmcnt(0)
	s_barrier
	ds_read_b64 v[114:115], v122
	ds_read2_b64 v[0:3], v118 offset0:88 offset1:208
	ds_read2_b64 v[16:19], v116 offset0:56 offset1:176
	;; [unrolled: 1-line block ×7, first 2 shown]
	ds_read_b64 v[108:109], v132
	ds_read_b64 v[94:95], v133
	ds_read2_b64 v[36:39], v136 offset0:72 offset1:192
	ds_read2_b64 v[44:47], v137 offset0:120 offset1:240
	ds_read2_b64 v[40:43], v138 offset0:40 offset1:160
	ds_read2_b64 v[52:55], v140 offset0:24 offset1:144
	ds_read2_b64 v[48:51], v141 offset0:72 offset1:192
	ds_read_b64 v[76:77], v139
	ds_read_b64 v[86:87], v123
	ds_read_b64 v[88:89], v122 offset:27840
	s_waitcnt lgkmcnt(0)
	s_barrier
	ds_write2_b64 v149, v[28:29], v[30:31] offset1:100
	ds_write2_b64 v64, v[32:33], v[34:35] offset0:72 offset1:172
	ds_write2_b64 v65, v[56:57], v[58:59] offset0:144 offset1:244
	ds_write2_b64 v72, v[74:75], v[78:79] offset1:100
	ds_write2_b64 v73, v[82:83], v[96:97] offset0:72 offset1:172
	ds_write2_b64 v84, v[100:101], v[110:111] offset0:144 offset1:244
	;; [unrolled: 3-line block ×5, first 2 shown]
	s_waitcnt lgkmcnt(0)
	s_barrier
	s_and_saveexec_b64 s[0:1], vcc
	s_cbranch_execz .LBB0_15
; %bb.14:
	v_mul_i32_i24_e32 v106, 5, v130
	v_lshl_add_u64 v[28:29], v[106:107], 4, s[4:5]
	s_mov_b64 s[0:1], 0x24e0
	v_lshl_add_u64 v[30:31], v[28:29], 0, s[0:1]
	v_add_co_u32_e32 v28, vcc, 0x2000, v28
	global_load_dwordx4 v[68:71], v[30:31], off offset:16
	global_load_dwordx4 v[64:67], v[30:31], off offset:32
	v_addc_co_u32_e32 v29, vcc, 0, v29, vcc
	global_load_dwordx4 v[60:63], v[30:31], off offset:48
	global_load_dwordx4 v[56:59], v[28:29], off offset:1248
	;; [unrolled: 1-line block ×3, first 2 shown]
	v_mul_i32_i24_e32 v106, 5, v126
	v_lshl_add_u64 v[100:101], v[106:107], 4, s[4:5]
	ds_read2_b64 v[82:85], v140 offset0:24 offset1:144
	ds_read2_b64 v[78:81], v141 offset0:72 offset1:192
	ds_read2_b64 v[32:35], v116 offset0:56 offset1:176
	ds_read2_b64 v[28:31], v117 offset0:104 offset1:224
	ds_read_b64 v[92:93], v139
	ds_read_b64 v[90:91], v123
	ds_read_b64 v[96:97], v122 offset:27840
	ds_read_b64 v[116:117], v122
	v_lshl_add_u64 v[104:105], v[100:101], 0, s[0:1]
	v_add_co_u32_e32 v122, vcc, s10, v100
	v_mul_i32_i24_e32 v106, 5, v127
	s_nop 0
	v_addc_co_u32_e32 v123, vcc, 0, v101, vcc
	global_load_dwordx4 v[100:103], v[104:105], off offset:48
	global_load_dwordx4 v[110:113], v[104:105], off offset:32
	;; [unrolled: 1-line block ×5, first 2 shown]
	v_mul_i32_i24_e32 v98, 0xffffffb8, v127
	s_waitcnt vmcnt(9)
	v_mul_f64 v[104:105], v[54:55], v[70:71]
	s_waitcnt lgkmcnt(7)
	v_mul_f64 v[70:71], v[84:85], v[70:71]
	s_waitcnt vmcnt(8) lgkmcnt(4)
	v_mul_f64 v[122:123], v[66:67], v[28:29]
	v_mul_f64 v[66:67], v[12:13], v[66:67]
	v_fma_f64 v[84:85], v[68:69], v[84:85], -v[104:105]
	v_fmac_f64_e32 v[70:71], v[54:55], v[68:69]
	s_waitcnt vmcnt(6)
	v_mul_f64 v[68:69], v[58:59], v[32:33]
	s_waitcnt vmcnt(5)
	v_mul_f64 v[54:55], v[88:89], v[74:75]
	v_mul_f64 v[132:133], v[50:51], v[62:63]
	;; [unrolled: 1-line block ×3, first 2 shown]
	v_fmac_f64_e32 v[122:123], v[12:13], v[64:65]
	s_waitcnt lgkmcnt(1)
	v_mul_f64 v[12:13], v[74:75], v[96:97]
	v_fma_f64 v[28:29], v[64:65], v[28:29], -v[66:67]
	v_mul_f64 v[58:59], v[16:17], v[58:59]
	v_fmac_f64_e32 v[68:69], v[16:17], v[56:57]
	v_fma_f64 v[16:17], v[72:73], v[96:97], -v[54:55]
	v_fma_f64 v[64:65], v[60:61], v[80:81], -v[132:133]
	v_fmac_f64_e32 v[62:63], v[50:51], v[60:61]
	v_fmac_f64_e32 v[12:13], v[88:89], v[72:73]
	v_fma_f64 v[32:33], v[56:57], v[32:33], -v[58:59]
	v_add_f64 v[74:75], v[28:29], v[16:17]
	v_add_f64 v[54:55], v[84:85], v[64:65]
	;; [unrolled: 1-line block ×4, first 2 shown]
	v_add_f64 v[72:73], v[28:29], -v[16:17]
	v_add_f64 v[80:81], v[122:123], -v[12:13]
	v_add_f64 v[28:29], v[32:33], v[28:29]
	v_fma_f64 v[32:33], -0.5, v[74:75], v[32:33]
	v_add_f64 v[50:51], v[92:93], v[84:85]
	v_add_f64 v[56:57], v[70:71], -v[62:63]
	v_add_f64 v[60:61], v[84:85], -v[64:65]
	v_fma_f64 v[84:85], -0.5, v[54:55], v[92:93]
	v_fma_f64 v[88:89], -0.5, v[58:59], v[76:77]
	;; [unrolled: 1-line block ×3, first 2 shown]
	v_fma_f64 v[58:59], s[2:3], v[80:81], v[32:33]
	v_add_f64 v[50:51], v[50:51], v[64:65]
	v_add_f64 v[16:17], v[28:29], v[16:17]
	v_fma_f64 v[28:29], s[2:3], v[56:57], v[84:85]
	v_fmac_f64_e32 v[84:85], s[6:7], v[56:57]
	v_fma_f64 v[56:57], s[6:7], v[72:73], v[54:55]
	v_fmac_f64_e32 v[54:55], s[2:3], v[72:73]
	v_fmac_f64_e32 v[32:33], s[6:7], v[80:81]
	v_mul_f64 v[72:73], v[58:59], -0.5
	v_add_f64 v[70:71], v[76:77], v[70:71]
	v_add_f64 v[64:65], v[50:51], -v[16:17]
	v_mul_f64 v[74:75], v[32:33], 0.5
	v_mul_f64 v[80:81], v[58:59], s[2:3]
	v_fmac_f64_e32 v[72:73], s[6:7], v[56:57]
	v_add_f64 v[92:93], v[70:71], v[62:63]
	v_add_f64 v[62:63], v[68:69], v[122:123]
	;; [unrolled: 1-line block ×3, first 2 shown]
	v_lshl_add_u64 v[16:17], v[106:107], 4, s[4:5]
	v_fmac_f64_e32 v[74:75], s[6:7], v[54:55]
	v_fmac_f64_e32 v[80:81], -0.5, v[56:57]
	v_add_f64 v[56:57], v[28:29], -v[72:73]
	v_add_f64 v[12:13], v[62:63], v[12:13]
	v_add_f64 v[68:69], v[28:29], v[72:73]
	v_lshl_add_u64 v[28:29], v[16:17], 0, s[0:1]
	v_add_co_u32_e32 v16, vcc, s10, v16
	v_fma_f64 v[66:67], s[6:7], v[60:61], v[88:89]
	v_fmac_f64_e32 v[88:89], s[2:3], v[60:61]
	v_add_f64 v[60:61], v[84:85], -v[74:75]
	v_add_f64 v[62:63], v[92:93], -v[12:13]
	v_add_f64 v[72:73], v[84:85], v[74:75]
	v_addc_co_u32_e32 v17, vcc, 0, v17, vcc
	v_add_f64 v[74:75], v[92:93], v[12:13]
	s_waitcnt vmcnt(2)
	v_mul_f64 v[12:13], v[52:53], v[142:143]
	v_mul_f64 v[50:51], v[82:83], v[142:143]
	global_load_dwordx4 v[152:155], v[28:29], off offset:32
	global_load_dwordx4 v[156:159], v[28:29], off offset:16
	;; [unrolled: 1-line block ×4, first 2 shown]
	v_fma_f64 v[12:13], v[140:141], v[82:83], -v[12:13]
	v_fmac_f64_e32 v[50:51], v[52:53], v[140:141]
	global_load_dwordx4 v[140:143], v[16:17], off offset:1312
	v_mul_f64 v[28:29], v[48:49], v[102:103]
	v_mul_f64 v[16:17], v[78:79], v[102:103]
	v_fma_f64 v[28:29], v[100:101], v[78:79], -v[28:29]
	v_fmac_f64_e32 v[16:17], v[48:49], v[100:101]
	ds_read2_b64 v[100:103], v136 offset0:72 offset1:192
	ds_read2_b64 v[168:171], v137 offset0:120 offset1:240
	;; [unrolled: 1-line block ×3, first 2 shown]
	v_mul_f64 v[32:33], v[32:33], s[2:3]
	v_fmac_f64_e32 v[32:33], 0.5, v[54:55]
	v_add_f64 v[54:55], v[66:67], -v[80:81]
	v_add_f64 v[66:67], v[66:67], v[80:81]
	s_waitcnt lgkmcnt(1)
	v_mul_f64 v[80:81], v[112:113], v[170:171]
	s_waitcnt vmcnt(5) lgkmcnt(0)
	v_mul_f64 v[84:85], v[150:151], v[138:139]
	v_mul_f64 v[78:79], v[146:147], v[102:103]
	v_fmac_f64_e32 v[80:81], v[46:47], v[110:111]
	v_fmac_f64_e32 v[84:85], v[42:43], v[148:149]
	v_mul_f64 v[46:47], v[46:47], v[112:113]
	v_mul_f64 v[42:43], v[42:43], v[150:151]
	v_fmac_f64_e32 v[78:79], v[38:39], v[144:145]
	v_fma_f64 v[46:47], v[110:111], v[170:171], -v[46:47]
	v_fma_f64 v[42:43], v[148:149], v[138:139], -v[42:43]
	v_mul_f64 v[38:39], v[38:39], v[146:147]
	v_add_f64 v[58:59], v[88:89], -v[32:33]
	v_add_f64 v[70:71], v[88:89], v[32:33]
	v_add_f64 v[32:33], v[12:13], v[28:29]
	v_fma_f64 v[38:39], v[144:145], v[102:103], -v[38:39]
	v_add_f64 v[96:97], v[46:47], v[42:43]
	v_fma_f64 v[32:33], -0.5, v[32:33], v[90:91]
	v_add_f64 v[48:49], v[50:51], -v[16:17]
	v_add_f64 v[52:53], v[80:81], v[84:85]
	v_fma_f64 v[96:97], -0.5, v[96:97], v[38:39]
	v_add_f64 v[38:39], v[38:39], v[46:47]
	v_fma_f64 v[82:83], s[2:3], v[48:49], v[32:33]
	v_fma_f64 v[52:53], -0.5, v[52:53], v[78:79]
	v_add_f64 v[88:89], v[46:47], -v[42:43]
	v_fmac_f64_e32 v[32:33], s[6:7], v[48:49]
	v_add_f64 v[48:49], v[80:81], -v[84:85]
	v_add_f64 v[38:39], v[38:39], v[42:43]
	v_add_f64 v[42:43], v[90:91], v[12:13]
	v_fma_f64 v[92:93], s[6:7], v[88:89], v[52:53]
	v_fmac_f64_e32 v[52:53], s[2:3], v[88:89]
	v_fma_f64 v[88:89], s[2:3], v[48:49], v[96:97]
	v_add_f64 v[42:43], v[42:43], v[28:29]
	v_add_f64 v[12:13], v[12:13], -v[28:29]
	v_add_f64 v[28:29], v[50:51], v[16:17]
	v_fmac_f64_e32 v[96:97], s[6:7], v[48:49]
	v_mul_f64 v[102:103], v[88:89], -0.5
	v_fma_f64 v[28:29], -0.5, v[28:29], v[86:87]
	v_mul_f64 v[90:91], v[88:89], s[2:3]
	v_add_f64 v[46:47], v[86:87], v[50:51]
	v_add_f64 v[78:79], v[78:79], v[80:81]
	v_fmac_f64_e32 v[102:103], s[6:7], v[92:93]
	v_fmac_f64_e32 v[90:91], -0.5, v[92:93]
	v_fma_f64 v[104:105], s[6:7], v[12:13], v[28:29]
	v_fmac_f64_e32 v[28:29], s[2:3], v[12:13]
	v_mul_f64 v[12:13], v[96:97], 0.5
	v_add_f64 v[16:17], v[46:47], v[16:17]
	v_add_f64 v[110:111], v[78:79], v[84:85]
	v_add_f64 v[48:49], v[82:83], -v[102:103]
	v_fmac_f64_e32 v[12:13], s[6:7], v[52:53]
	v_mul_f64 v[96:97], v[96:97], s[2:3]
	v_add_f64 v[46:47], v[104:105], -v[90:91]
	v_add_f64 v[78:79], v[16:17], -v[110:111]
	v_add_f64 v[84:85], v[82:83], v[102:103]
	v_add_f64 v[82:83], v[104:105], v[90:91]
	;; [unrolled: 1-line block ×3, first 2 shown]
	ds_read2_b64 v[110:113], v134 offset0:40 offset1:160
	v_fmac_f64_e32 v[96:97], 0.5, v[52:53]
	v_add_f64 v[52:53], v[32:33], -v[12:13]
	v_add_f64 v[88:89], v[32:33], v[12:13]
	v_add_u32_e32 v12, v121, v98
	ds_read2_b64 v[132:135], v135 offset0:88 offset1:208
	ds_read_b64 v[12:13], v12
	v_mul_i32_i24_e32 v106, 5, v129
	v_add_f64 v[50:51], v[28:29], -v[96:97]
	v_add_f64 v[86:87], v[28:29], v[96:97]
	v_lshl_add_u64 v[98:99], v[106:107], 4, s[4:5]
	v_add_f64 v[80:81], v[42:43], -v[38:39]
	v_add_f64 v[92:93], v[42:43], v[38:39]
	s_waitcnt vmcnt(1)
	v_mul_f64 v[28:29], v[22:23], v[166:167]
	s_waitcnt vmcnt(0)
	v_mul_f64 v[96:97], v[142:143], v[136:137]
	s_waitcnt lgkmcnt(2)
	v_mul_f64 v[38:39], v[112:113], v[158:159]
	v_fmac_f64_e32 v[96:97], v[40:41], v[140:141]
	v_mul_f64 v[40:41], v[40:41], v[142:143]
	v_lshl_add_u64 v[102:103], v[98:99], 0, s[0:1]
	v_add_co_u32_e32 v98, vcc, s10, v98
	v_mul_f64 v[16:17], v[26:27], v[158:159]
	s_waitcnt lgkmcnt(1)
	v_fma_f64 v[28:29], v[164:165], v[134:135], -v[28:29]
	v_fmac_f64_e32 v[38:39], v[26:27], v[156:157]
	v_mul_f64 v[26:27], v[134:135], v[166:167]
	v_fma_f64 v[40:41], v[140:141], v[136:137], -v[40:41]
	v_addc_co_u32_e32 v99, vcc, 0, v99, vcc
	global_load_dwordx4 v[134:137], v[102:103], off offset:32
	global_load_dwordx4 v[138:141], v[102:103], off offset:16
	;; [unrolled: 1-line block ×4, first 2 shown]
	v_mul_f64 v[42:43], v[154:155], v[168:169]
	v_fma_f64 v[16:17], v[156:157], v[112:113], -v[16:17]
	v_fmac_f64_e32 v[42:43], v[44:45], v[152:153]
	v_mul_f64 v[44:45], v[44:45], v[154:155]
	v_mul_f64 v[102:103], v[162:163], v[100:101]
	v_add_f64 v[32:33], v[16:17], v[28:29]
	v_fma_f64 v[44:45], v[152:153], v[168:169], -v[44:45]
	v_fmac_f64_e32 v[26:27], v[22:23], v[164:165]
	v_fmac_f64_e32 v[102:103], v[36:37], v[160:161]
	v_mul_f64 v[36:37], v[36:37], v[162:163]
	s_waitcnt lgkmcnt(0)
	v_fma_f64 v[32:33], -0.5, v[32:33], v[12:13]
	v_add_f64 v[22:23], v[38:39], -v[26:27]
	v_fma_f64 v[36:37], v[160:161], v[100:101], -v[36:37]
	v_add_f64 v[100:101], v[42:43], v[96:97]
	v_add_f64 v[126:127], v[44:45], v[40:41]
	global_load_dwordx4 v[150:153], v[98:99], off offset:1312
	v_fma_f64 v[104:105], s[2:3], v[22:23], v[32:33]
	v_fma_f64 v[100:101], -0.5, v[100:101], v[102:103]
	v_add_f64 v[112:113], v[44:45], -v[40:41]
	v_fma_f64 v[126:127], -0.5, v[126:127], v[36:37]
	v_fmac_f64_e32 v[32:33], s[6:7], v[22:23]
	v_add_f64 v[22:23], v[42:43], -v[96:97]
	v_add_f64 v[12:13], v[12:13], v[16:17]
	v_fma_f64 v[122:123], s[6:7], v[112:113], v[100:101]
	v_fmac_f64_e32 v[100:101], s[2:3], v[112:113]
	v_fma_f64 v[112:113], s[2:3], v[22:23], v[126:127]
	v_add_f64 v[12:13], v[12:13], v[28:29]
	v_add_f64 v[16:17], v[16:17], -v[28:29]
	v_add_f64 v[28:29], v[38:39], v[26:27]
	v_fmac_f64_e32 v[126:127], s[6:7], v[22:23]
	v_add_f64 v[22:23], v[36:37], v[44:45]
	v_mul_f64 v[44:45], v[112:113], -0.5
	v_fma_f64 v[154:155], -0.5, v[28:29], v[94:95]
	v_mul_f64 v[112:113], v[112:113], s[2:3]
	v_add_f64 v[36:37], v[94:95], v[38:39]
	v_fmac_f64_e32 v[44:45], s[6:7], v[122:123]
	v_add_f64 v[22:23], v[22:23], v[40:41]
	v_mul_f64 v[98:99], v[126:127], 0.5
	v_fmac_f64_e32 v[112:113], -0.5, v[122:123]
	v_fma_f64 v[122:123], s[6:7], v[16:17], v[154:155]
	v_fmac_f64_e32 v[154:155], s[2:3], v[16:17]
	v_mul_f64 v[16:17], v[126:127], s[2:3]
	v_add_f64 v[126:127], v[36:37], v[26:27]
	v_add_f64 v[26:27], v[102:103], v[42:43]
	v_mul_i32_i24_e32 v106, 0xffffffb8, v129
	v_add_f64 v[28:29], v[104:105], -v[44:45]
	v_add_f64 v[102:103], v[26:27], v[96:97]
	v_add_f64 v[42:43], v[12:13], -v[22:23]
	v_add_f64 v[96:97], v[104:105], v[44:45]
	v_add_f64 v[104:105], v[12:13], v[22:23]
	v_mul_u32_u24_e32 v13, 5, v128
	v_fmac_f64_e32 v[98:99], s[6:7], v[100:101]
	v_fmac_f64_e32 v[16:17], 0.5, v[100:101]
	v_add_u32_e32 v12, v131, v106
	v_lshlrev_b32_e32 v106, 4, v13
	v_add_f64 v[38:39], v[32:33], -v[98:99]
	v_add_f64 v[36:37], v[154:155], -v[16:17]
	v_add_f64 v[100:101], v[32:33], v[98:99]
	v_add_f64 v[98:99], v[154:155], v[16:17]
	v_lshl_add_u64 v[16:17], s[4:5], 0, v[106:107]
	v_lshl_add_u64 v[32:33], v[16:17], 0, s[0:1]
	global_load_dwordx4 v[154:157], v[32:33], off offset:16
	ds_read_b64 v[12:13], v12
	v_add_f64 v[26:27], v[122:123], -v[112:113]
	v_add_f64 v[94:95], v[122:123], v[112:113]
	ds_read2_b64 v[120:123], v120 offset0:8 offset1:128
	v_add_f64 v[40:41], v[126:127], -v[102:103]
	v_add_f64 v[102:103], v[126:127], v[102:103]
	s_waitcnt vmcnt(4)
	v_mul_f64 v[22:23], v[24:25], v[140:141]
	v_fma_f64 v[22:23], v[138:139], v[110:111], -v[22:23]
	s_waitcnt vmcnt(2)
	v_mul_f64 v[44:45], v[20:21], v[148:149]
	v_fma_f64 v[44:45], v[146:147], v[132:133], -v[44:45]
	v_add_f64 v[106:107], v[22:23], v[44:45]
	s_waitcnt lgkmcnt(1)
	v_fma_f64 v[126:127], -0.5, v[106:107], v[12:13]
	v_mul_f64 v[106:107], v[110:111], v[140:141]
	v_fmac_f64_e32 v[106:107], v[24:25], v[138:139]
	ds_read2_b64 v[138:141], v119 offset0:56 offset1:176
	v_mul_f64 v[24:25], v[132:133], v[148:149]
	ds_read2_b64 v[130:133], v118 offset0:88 offset1:208
	s_waitcnt lgkmcnt(2)
	v_mul_f64 v[118:119], v[136:137], v[122:123]
	v_fmac_f64_e32 v[118:119], v[6:7], v[134:135]
	v_mul_f64 v[6:7], v[6:7], v[136:137]
	v_fma_f64 v[6:7], v[134:135], v[122:123], -v[6:7]
	v_fmac_f64_e32 v[24:25], v[20:21], v[146:147]
	s_waitcnt lgkmcnt(0)
	v_mul_f64 v[112:113], v[144:145], v[132:133]
	v_add_f64 v[20:21], v[106:107], -v[24:25]
	s_waitcnt vmcnt(1)
	v_mul_f64 v[122:123], v[152:153], v[140:141]
	v_fmac_f64_e32 v[122:123], v[10:11], v[150:151]
	v_mul_f64 v[10:11], v[10:11], v[152:153]
	v_fmac_f64_e32 v[112:113], v[2:3], v[142:143]
	v_fma_f64 v[10:11], v[150:151], v[140:141], -v[10:11]
	v_add_f64 v[134:135], v[118:119], v[122:123]
	v_mul_f64 v[2:3], v[2:3], v[144:145]
	global_load_dwordx4 v[144:147], v[32:33], off offset:48
	v_fma_f64 v[110:111], s[2:3], v[20:21], v[126:127]
	v_fma_f64 v[134:135], -0.5, v[134:135], v[112:113]
	v_fma_f64 v[2:3], v[142:143], v[132:133], -v[2:3]
	v_add_f64 v[132:133], v[6:7], -v[10:11]
	v_fmac_f64_e32 v[126:127], s[6:7], v[20:21]
	v_add_f64 v[20:21], v[6:7], v[10:11]
	v_fma_f64 v[136:137], s[6:7], v[132:133], v[134:135]
	v_fma_f64 v[20:21], -0.5, v[20:21], v[2:3]
	v_fmac_f64_e32 v[134:135], s[2:3], v[132:133]
	v_add_f64 v[132:133], v[118:119], -v[122:123]
	v_add_f64 v[2:3], v[2:3], v[6:7]
	v_fma_f64 v[140:141], s[2:3], v[132:133], v[20:21]
	v_add_f64 v[2:3], v[2:3], v[10:11]
	v_add_f64 v[10:11], v[12:13], v[22:23]
	;; [unrolled: 1-line block ×3, first 2 shown]
	v_mul_f64 v[6:7], v[140:141], -0.5
	v_add_f64 v[142:143], v[10:11], v[44:45]
	v_add_f64 v[10:11], v[22:23], -v[44:45]
	v_fma_f64 v[44:45], -0.5, v[12:13], v[108:109]
	v_mul_f64 v[140:141], v[140:141], s[2:3]
	v_fmac_f64_e32 v[20:21], s[6:7], v[132:133]
	v_fmac_f64_e32 v[6:7], s[6:7], v[136:137]
	v_fmac_f64_e32 v[140:141], -0.5, v[136:137]
	v_fma_f64 v[136:137], s[6:7], v[10:11], v[44:45]
	v_fmac_f64_e32 v[44:45], s[2:3], v[10:11]
	v_add_f64 v[10:11], v[108:109], v[106:107]
	v_mul_f64 v[132:133], v[20:21], 0.5
	v_mul_f64 v[148:149], v[20:21], s[2:3]
	v_add_f64 v[24:25], v[10:11], v[24:25]
	v_add_f64 v[10:11], v[112:113], v[118:119]
	v_add_f64 v[108:109], v[142:143], -v[2:3]
	v_add_f64 v[142:143], v[142:143], v[2:3]
	v_add_co_u32_e32 v2, vcc, s10, v16
	v_fmac_f64_e32 v[132:133], s[6:7], v[134:135]
	v_fmac_f64_e32 v[148:149], 0.5, v[134:135]
	v_add_f64 v[12:13], v[110:111], -v[6:7]
	v_add_f64 v[118:119], v[10:11], v[122:123]
	v_add_f64 v[112:113], v[110:111], v[6:7]
	v_addc_co_u32_e32 v3, vcc, 0, v17, vcc
	s_waitcnt vmcnt(1)
	v_mul_f64 v[6:7], v[18:19], v[156:157]
	v_add_f64 v[22:23], v[126:127], -v[132:133]
	v_add_f64 v[10:11], v[136:137], -v[140:141]
	;; [unrolled: 1-line block ×4, first 2 shown]
	v_add_f64 v[134:135], v[126:127], v[132:133]
	v_add_f64 v[110:111], v[136:137], v[140:141]
	;; [unrolled: 1-line block ×4, first 2 shown]
	global_load_dwordx4 v[148:151], v[32:33], off offset:32
	global_load_dwordx4 v[158:161], v[2:3], off offset:1248
	v_fma_f64 v[24:25], v[154:155], v[34:35], -v[6:7]
	v_mul_f64 v[44:45], v[34:35], v[156:157]
	global_load_dwordx4 v[32:35], v[2:3], off offset:1312
	v_fmac_f64_e32 v[44:45], v[18:19], v[154:155]
	s_waitcnt vmcnt(3)
	v_mul_f64 v[2:3], v[14:15], v[146:147]
	v_fma_f64 v[18:19], v[144:145], v[30:31], -v[2:3]
	v_mul_f64 v[30:31], v[30:31], v[146:147]
	v_add_f64 v[2:3], v[24:25], v[18:19]
	v_fmac_f64_e32 v[30:31], v[14:15], v[144:145]
	v_fma_f64 v[118:119], -0.5, v[2:3], v[116:117]
	v_add_f64 v[6:7], v[44:45], -v[30:31]
	v_fma_f64 v[122:123], s[2:3], v[6:7], v[118:119]
	v_fmac_f64_e32 v[118:119], s[6:7], v[6:7]
	s_waitcnt vmcnt(2)
	v_mul_f64 v[126:127], v[150:151], v[120:121]
	s_waitcnt vmcnt(1)
	v_mul_f64 v[14:15], v[160:161], v[130:131]
	v_fmac_f64_e32 v[126:127], v[4:5], v[148:149]
	v_fmac_f64_e32 v[14:15], v[0:1], v[158:159]
	s_waitcnt vmcnt(0)
	v_mul_f64 v[136:137], v[34:35], v[138:139]
	v_fmac_f64_e32 v[136:137], v[8:9], v[32:33]
	v_add_f64 v[2:3], v[126:127], v[136:137]
	v_fma_f64 v[144:145], -0.5, v[2:3], v[14:15]
	v_mul_f64 v[2:3], v[4:5], v[150:151]
	v_fma_f64 v[4:5], v[148:149], v[120:121], -v[2:3]
	v_mul_f64 v[2:3], v[8:9], v[34:35]
	v_fma_f64 v[8:9], v[32:33], v[138:139], -v[2:3]
	;; [unrolled: 2-line block ×3, first 2 shown]
	v_add_f64 v[2:3], v[4:5], v[8:9]
	v_fma_f64 v[34:35], -0.5, v[2:3], v[0:1]
	v_add_f64 v[120:121], v[126:127], -v[136:137]
	v_add_f64 v[16:17], v[4:5], -v[8:9]
	v_fma_f64 v[130:131], s[2:3], v[120:121], v[34:35]
	v_fmac_f64_e32 v[34:35], s[6:7], v[120:121]
	v_add_f64 v[0:1], v[0:1], v[4:5]
	v_fma_f64 v[32:33], s[6:7], v[16:17], v[144:145]
	v_fmac_f64_e32 v[144:145], s[2:3], v[16:17]
	v_mul_f64 v[120:121], v[34:35], 0.5
	v_add_f64 v[16:17], v[116:117], v[24:25]
	v_add_f64 v[8:9], v[0:1], v[8:9]
	;; [unrolled: 1-line block ×3, first 2 shown]
	v_mul_f64 v[138:139], v[130:131], -0.5
	v_fmac_f64_e32 v[120:121], s[6:7], v[144:145]
	v_add_f64 v[146:147], v[16:17], v[18:19]
	v_fma_f64 v[148:149], -0.5, v[0:1], v[114:115]
	v_add_f64 v[4:5], v[24:25], -v[18:19]
	v_mul_f64 v[24:25], v[130:131], s[2:3]
	v_fmac_f64_e32 v[138:139], s[6:7], v[32:33]
	v_add_f64 v[6:7], v[118:119], -v[120:121]
	v_add_f64 v[16:17], v[146:147], -v[8:9]
	v_fma_f64 v[18:19], s[6:7], v[4:5], v[148:149]
	v_fmac_f64_e32 v[24:25], -0.5, v[32:33]
	v_add_f64 v[32:33], v[114:115], v[44:45]
	v_add_f64 v[116:117], v[118:119], v[120:121]
	;; [unrolled: 1-line block ×3, first 2 shown]
	v_mad_u64_u32 v[8:9], s[0:1], s8, v128, 0
	v_add_f64 v[0:1], v[18:19], -v[24:25]
	v_add_f64 v[44:45], v[32:33], v[30:31]
	v_add_f64 v[30:31], v[18:19], v[24:25]
	v_mov_b32_e32 v18, v9
	v_add_f64 v[14:15], v[14:15], v[126:127]
	v_mad_u64_u32 v[18:19], s[0:1], s9, v128, v[18:19]
	v_add_f64 v[126:127], v[14:15], v[136:137]
	v_mov_b32_e32 v9, v18
	v_add_f64 v[118:119], v[44:45], v[126:127]
	v_lshl_add_u64 v[8:9], v[8:9], 4, v[124:125]
	v_add_u32_e32 v19, 0x258, v128
	global_store_dwordx4 v[8:9], v[118:121], off
	v_mad_u64_u32 v[8:9], s[0:1], s8, v19, 0
	v_mov_b32_e32 v18, v9
	v_mul_f64 v[34:35], v[34:35], s[2:3]
	v_mad_u64_u32 v[18:19], s[0:1], s9, v19, v[18:19]
	v_fmac_f64_e32 v[148:149], s[2:3], v[4:5]
	v_fmac_f64_e32 v[34:35], 0.5, v[144:145]
	v_mov_b32_e32 v9, v18
	v_add_f64 v[114:115], v[148:149], v[34:35]
	v_lshl_add_u64 v[8:9], v[8:9], 4, v[124:125]
	v_add_u32_e32 v19, 0x4b0, v128
	global_store_dwordx4 v[8:9], v[114:117], off
	v_mad_u64_u32 v[8:9], s[0:1], s8, v19, 0
	v_mov_b32_e32 v18, v9
	v_mad_u64_u32 v[18:19], s[0:1], s9, v19, v[18:19]
	v_mov_b32_e32 v9, v18
	v_add_f64 v[32:33], v[122:123], v[138:139]
	v_lshl_add_u64 v[8:9], v[8:9], 4, v[124:125]
	v_add_u32_e32 v19, 0x708, v128
	global_store_dwordx4 v[8:9], v[30:33], off
	v_mad_u64_u32 v[8:9], s[0:1], s8, v19, 0
	v_mov_b32_e32 v18, v9
	v_mad_u64_u32 v[18:19], s[0:1], s9, v19, v[18:19]
	v_mov_b32_e32 v9, v18
	v_add_f64 v[14:15], v[44:45], -v[126:127]
	v_lshl_add_u64 v[8:9], v[8:9], 4, v[124:125]
	global_store_dwordx4 v[8:9], v[14:17], off
	v_add_f64 v[4:5], v[148:149], -v[34:35]
	v_add_f64 v[2:3], v[122:123], -v[138:139]
	v_add_u32_e32 v15, 0x960, v128
	v_mad_u64_u32 v[8:9], s[0:1], s8, v15, 0
	v_mov_b32_e32 v14, v9
	v_mad_u64_u32 v[14:15], s[0:1], s9, v15, v[14:15]
	v_mov_b32_e32 v9, v14
	v_lshl_add_u64 v[8:9], v[8:9], 4, v[124:125]
	global_store_dwordx4 v[8:9], v[4:7], off
	s_mov_b32 s1, 0x1b4e81b5
	s_movk_i32 s0, 0xbb8
	v_add_u32_e32 v7, 0xbb8, v128
	v_mad_u64_u32 v[4:5], s[2:3], s8, v7, 0
	v_mov_b32_e32 v6, v5
	v_mad_u64_u32 v[6:7], s[2:3], s9, v7, v[6:7]
	v_mov_b32_e32 v5, v6
	v_lshl_add_u64 v[4:5], v[4:5], 4, v[124:125]
	global_store_dwordx4 v[4:5], v[0:3], off
	s_nop 1
	v_add_u32_e32 v3, 0x78, v128
	v_mad_u64_u32 v[0:1], s[2:3], s8, v3, 0
	v_mov_b32_e32 v2, v1
	v_mad_u64_u32 v[2:3], s[2:3], s9, v3, v[2:3]
	v_mov_b32_e32 v1, v2
	v_lshl_add_u64 v[0:1], v[0:1], 4, v[124:125]
	v_add_u32_e32 v3, 0x2d0, v128
	global_store_dwordx4 v[0:1], v[140:143], off
	v_mad_u64_u32 v[0:1], s[2:3], s8, v3, 0
	v_mov_b32_e32 v2, v1
	v_mad_u64_u32 v[2:3], s[2:3], s9, v3, v[2:3]
	v_mov_b32_e32 v1, v2
	v_lshl_add_u64 v[0:1], v[0:1], 4, v[124:125]
	v_add_u32_e32 v3, 0x528, v128
	global_store_dwordx4 v[0:1], v[132:135], off
	v_mad_u64_u32 v[0:1], s[2:3], s8, v3, 0
	v_mov_b32_e32 v2, v1
	v_mad_u64_u32 v[2:3], s[2:3], s9, v3, v[2:3]
	v_mov_b32_e32 v1, v2
	v_lshl_add_u64 v[0:1], v[0:1], 4, v[124:125]
	v_or_b32_e32 v3, 0x780, v128
	global_store_dwordx4 v[0:1], v[110:113], off
	v_mad_u64_u32 v[0:1], s[2:3], s8, v3, 0
	v_mov_b32_e32 v2, v1
	v_mad_u64_u32 v[2:3], s[2:3], s9, v3, v[2:3]
	v_mov_b32_e32 v1, v2
	v_lshl_add_u64 v[0:1], v[0:1], 4, v[124:125]
	v_add_u32_e32 v3, 0x9d8, v128
	global_store_dwordx4 v[0:1], v[106:109], off
	v_mad_u64_u32 v[0:1], s[2:3], s8, v3, 0
	v_mov_b32_e32 v2, v1
	v_mad_u64_u32 v[2:3], s[2:3], s9, v3, v[2:3]
	v_mov_b32_e32 v1, v2
	v_lshl_add_u64 v[0:1], v[0:1], 4, v[124:125]
	v_add_u32_e32 v3, 0xc30, v128
	;; [unrolled: 7-line block ×14, first 2 shown]
	global_store_dwordx4 v[0:1], v[50:53], off
	v_mad_u64_u32 v[0:1], s[2:3], s8, v3, 0
	v_mov_b32_e32 v2, v1
	v_mad_u64_u32 v[2:3], s[2:3], s9, v3, v[2:3]
	v_mov_b32_e32 v1, v2
	v_lshl_add_u64 v[0:1], v[0:1], 4, v[124:125]
	global_store_dwordx4 v[0:1], v[46:49], off
	v_add_u32_e32 v0, 0x1e0, v128
	v_mul_hi_u32 v1, v0, s1
	v_lshrrev_b32_e32 v1, 6, v1
	v_mad_u32_u24 v4, v1, s0, v0
	v_mad_u64_u32 v[0:1], s[0:1], s8, v4, 0
	v_mov_b32_e32 v2, v1
	v_mad_u64_u32 v[2:3], s[0:1], s9, v4, v[2:3]
	v_mov_b32_e32 v1, v2
	v_lshl_add_u64 v[0:1], v[0:1], 4, v[124:125]
	v_add_u32_e32 v3, 0x258, v4
	global_store_dwordx4 v[0:1], v[74:77], off
	v_mad_u64_u32 v[0:1], s[0:1], s8, v3, 0
	v_mov_b32_e32 v2, v1
	v_mad_u64_u32 v[2:3], s[0:1], s9, v3, v[2:3]
	v_mov_b32_e32 v1, v2
	v_lshl_add_u64 v[0:1], v[0:1], 4, v[124:125]
	v_add_u32_e32 v3, 0x4b0, v4
	global_store_dwordx4 v[0:1], v[70:73], off
	;; [unrolled: 7-line block ×5, first 2 shown]
	v_mad_u64_u32 v[0:1], s[0:1], s8, v3, 0
	v_mov_b32_e32 v2, v1
	v_mad_u64_u32 v[2:3], s[0:1], s9, v3, v[2:3]
	v_mov_b32_e32 v1, v2
	v_lshl_add_u64 v[0:1], v[0:1], 4, v[124:125]
	global_store_dwordx4 v[0:1], v[54:57], off
.LBB0_15:
	s_endpgm
	.section	.rodata,"a",@progbits
	.p2align	6, 0x0
	.amdhsa_kernel fft_rtc_back_len3600_factors_10_10_6_6_wgs_120_tpt_120_halfLds_dp_ip_CI_sbrr_dirReg
		.amdhsa_group_segment_fixed_size 0
		.amdhsa_private_segment_fixed_size 0
		.amdhsa_kernarg_size 88
		.amdhsa_user_sgpr_count 2
		.amdhsa_user_sgpr_dispatch_ptr 0
		.amdhsa_user_sgpr_queue_ptr 0
		.amdhsa_user_sgpr_kernarg_segment_ptr 1
		.amdhsa_user_sgpr_dispatch_id 0
		.amdhsa_user_sgpr_kernarg_preload_length 0
		.amdhsa_user_sgpr_kernarg_preload_offset 0
		.amdhsa_user_sgpr_private_segment_size 0
		.amdhsa_uses_dynamic_stack 0
		.amdhsa_enable_private_segment 0
		.amdhsa_system_sgpr_workgroup_id_x 1
		.amdhsa_system_sgpr_workgroup_id_y 0
		.amdhsa_system_sgpr_workgroup_id_z 0
		.amdhsa_system_sgpr_workgroup_info 0
		.amdhsa_system_vgpr_workitem_id 0
		.amdhsa_next_free_vgpr 185
		.amdhsa_next_free_sgpr 24
		.amdhsa_accum_offset 188
		.amdhsa_reserve_vcc 1
		.amdhsa_float_round_mode_32 0
		.amdhsa_float_round_mode_16_64 0
		.amdhsa_float_denorm_mode_32 3
		.amdhsa_float_denorm_mode_16_64 3
		.amdhsa_dx10_clamp 1
		.amdhsa_ieee_mode 1
		.amdhsa_fp16_overflow 0
		.amdhsa_tg_split 0
		.amdhsa_exception_fp_ieee_invalid_op 0
		.amdhsa_exception_fp_denorm_src 0
		.amdhsa_exception_fp_ieee_div_zero 0
		.amdhsa_exception_fp_ieee_overflow 0
		.amdhsa_exception_fp_ieee_underflow 0
		.amdhsa_exception_fp_ieee_inexact 0
		.amdhsa_exception_int_div_zero 0
	.end_amdhsa_kernel
	.text
.Lfunc_end0:
	.size	fft_rtc_back_len3600_factors_10_10_6_6_wgs_120_tpt_120_halfLds_dp_ip_CI_sbrr_dirReg, .Lfunc_end0-fft_rtc_back_len3600_factors_10_10_6_6_wgs_120_tpt_120_halfLds_dp_ip_CI_sbrr_dirReg
                                        ; -- End function
	.section	.AMDGPU.csdata,"",@progbits
; Kernel info:
; codeLenInByte = 19452
; NumSgprs: 30
; NumVgprs: 185
; NumAgprs: 0
; TotalNumVgprs: 185
; ScratchSize: 0
; MemoryBound: 1
; FloatMode: 240
; IeeeMode: 1
; LDSByteSize: 0 bytes/workgroup (compile time only)
; SGPRBlocks: 3
; VGPRBlocks: 23
; NumSGPRsForWavesPerEU: 30
; NumVGPRsForWavesPerEU: 185
; AccumOffset: 188
; Occupancy: 2
; WaveLimiterHint : 1
; COMPUTE_PGM_RSRC2:SCRATCH_EN: 0
; COMPUTE_PGM_RSRC2:USER_SGPR: 2
; COMPUTE_PGM_RSRC2:TRAP_HANDLER: 0
; COMPUTE_PGM_RSRC2:TGID_X_EN: 1
; COMPUTE_PGM_RSRC2:TGID_Y_EN: 0
; COMPUTE_PGM_RSRC2:TGID_Z_EN: 0
; COMPUTE_PGM_RSRC2:TIDIG_COMP_CNT: 0
; COMPUTE_PGM_RSRC3_GFX90A:ACCUM_OFFSET: 46
; COMPUTE_PGM_RSRC3_GFX90A:TG_SPLIT: 0
	.text
	.p2alignl 6, 3212836864
	.fill 256, 4, 3212836864
	.type	__hip_cuid_75654aa22d6ddf56,@object ; @__hip_cuid_75654aa22d6ddf56
	.section	.bss,"aw",@nobits
	.globl	__hip_cuid_75654aa22d6ddf56
__hip_cuid_75654aa22d6ddf56:
	.byte	0                               ; 0x0
	.size	__hip_cuid_75654aa22d6ddf56, 1

	.ident	"AMD clang version 19.0.0git (https://github.com/RadeonOpenCompute/llvm-project roc-6.4.0 25133 c7fe45cf4b819c5991fe208aaa96edf142730f1d)"
	.section	".note.GNU-stack","",@progbits
	.addrsig
	.addrsig_sym __hip_cuid_75654aa22d6ddf56
	.amdgpu_metadata
---
amdhsa.kernels:
  - .agpr_count:     0
    .args:
      - .actual_access:  read_only
        .address_space:  global
        .offset:         0
        .size:           8
        .value_kind:     global_buffer
      - .offset:         8
        .size:           8
        .value_kind:     by_value
      - .actual_access:  read_only
        .address_space:  global
        .offset:         16
        .size:           8
        .value_kind:     global_buffer
      - .actual_access:  read_only
        .address_space:  global
        .offset:         24
        .size:           8
        .value_kind:     global_buffer
      - .offset:         32
        .size:           8
        .value_kind:     by_value
      - .actual_access:  read_only
        .address_space:  global
        .offset:         40
        .size:           8
        .value_kind:     global_buffer
      - .actual_access:  read_only
        .address_space:  global
        .offset:         48
        .size:           8
        .value_kind:     global_buffer
      - .offset:         56
        .size:           4
        .value_kind:     by_value
      - .actual_access:  read_only
        .address_space:  global
        .offset:         64
        .size:           8
        .value_kind:     global_buffer
      - .actual_access:  read_only
        .address_space:  global
        .offset:         72
        .size:           8
        .value_kind:     global_buffer
      - .address_space:  global
        .offset:         80
        .size:           8
        .value_kind:     global_buffer
    .group_segment_fixed_size: 0
    .kernarg_segment_align: 8
    .kernarg_segment_size: 88
    .language:       OpenCL C
    .language_version:
      - 2
      - 0
    .max_flat_workgroup_size: 120
    .name:           fft_rtc_back_len3600_factors_10_10_6_6_wgs_120_tpt_120_halfLds_dp_ip_CI_sbrr_dirReg
    .private_segment_fixed_size: 0
    .sgpr_count:     30
    .sgpr_spill_count: 0
    .symbol:         fft_rtc_back_len3600_factors_10_10_6_6_wgs_120_tpt_120_halfLds_dp_ip_CI_sbrr_dirReg.kd
    .uniform_work_group_size: 1
    .uses_dynamic_stack: false
    .vgpr_count:     185
    .vgpr_spill_count: 0
    .wavefront_size: 64
amdhsa.target:   amdgcn-amd-amdhsa--gfx950
amdhsa.version:
  - 1
  - 2
...

	.end_amdgpu_metadata
